;; amdgpu-corpus repo=ROCm/composable_kernel kind=compiled arch=gfx1201 opt=O3
	.amdgcn_target "amdgcn-amd-amdhsa--gfx1201"
	.amdhsa_code_object_version 6
	.section	.text._ZN2ckL12flush_icacheEv,"axG",@progbits,_ZN2ckL12flush_icacheEv,comdat
	.globl	_ZN2ckL12flush_icacheEv         ; -- Begin function _ZN2ckL12flush_icacheEv
	.p2align	8
	.type	_ZN2ckL12flush_icacheEv,@function
_ZN2ckL12flush_icacheEv:                ; @_ZN2ckL12flush_icacheEv
; %bb.0:
	;;#ASMSTART
	s_icache_inv 
	s_nop 0 
	s_nop 0 
	;; [unrolled: 1-line block ×16, first 2 shown]
	
	;;#ASMEND
	s_endpgm
	.section	.rodata,"a",@progbits
	.p2align	6, 0x0
	.amdhsa_kernel _ZN2ckL12flush_icacheEv
		.amdhsa_group_segment_fixed_size 0
		.amdhsa_private_segment_fixed_size 0
		.amdhsa_kernarg_size 0
		.amdhsa_user_sgpr_count 0
		.amdhsa_user_sgpr_dispatch_ptr 0
		.amdhsa_user_sgpr_queue_ptr 0
		.amdhsa_user_sgpr_kernarg_segment_ptr 0
		.amdhsa_user_sgpr_dispatch_id 0
		.amdhsa_user_sgpr_private_segment_size 0
		.amdhsa_wavefront_size32 1
		.amdhsa_uses_dynamic_stack 0
		.amdhsa_enable_private_segment 0
		.amdhsa_system_sgpr_workgroup_id_x 1
		.amdhsa_system_sgpr_workgroup_id_y 0
		.amdhsa_system_sgpr_workgroup_id_z 0
		.amdhsa_system_sgpr_workgroup_info 0
		.amdhsa_system_vgpr_workitem_id 0
		.amdhsa_next_free_vgpr 1
		.amdhsa_next_free_sgpr 1
		.amdhsa_reserve_vcc 0
		.amdhsa_float_round_mode_32 0
		.amdhsa_float_round_mode_16_64 0
		.amdhsa_float_denorm_mode_32 3
		.amdhsa_float_denorm_mode_16_64 3
		.amdhsa_fp16_overflow 0
		.amdhsa_workgroup_processor_mode 1
		.amdhsa_memory_ordered 1
		.amdhsa_forward_progress 1
		.amdhsa_inst_pref_size 1
		.amdhsa_round_robin_scheduling 0
		.amdhsa_exception_fp_ieee_invalid_op 0
		.amdhsa_exception_fp_denorm_src 0
		.amdhsa_exception_fp_ieee_div_zero 0
		.amdhsa_exception_fp_ieee_overflow 0
		.amdhsa_exception_fp_ieee_underflow 0
		.amdhsa_exception_fp_ieee_inexact 0
		.amdhsa_exception_int_div_zero 0
	.end_amdhsa_kernel
	.section	.text._ZN2ckL12flush_icacheEv,"axG",@progbits,_ZN2ckL12flush_icacheEv,comdat
.Lfunc_end0:
	.size	_ZN2ckL12flush_icacheEv, .Lfunc_end0-_ZN2ckL12flush_icacheEv
                                        ; -- End function
	.set _ZN2ckL12flush_icacheEv.num_vgpr, 0
	.set _ZN2ckL12flush_icacheEv.num_agpr, 0
	.set _ZN2ckL12flush_icacheEv.numbered_sgpr, 0
	.set _ZN2ckL12flush_icacheEv.num_named_barrier, 0
	.set _ZN2ckL12flush_icacheEv.private_seg_size, 0
	.set _ZN2ckL12flush_icacheEv.uses_vcc, 0
	.set _ZN2ckL12flush_icacheEv.uses_flat_scratch, 0
	.set _ZN2ckL12flush_icacheEv.has_dyn_sized_stack, 0
	.set _ZN2ckL12flush_icacheEv.has_recursion, 0
	.set _ZN2ckL12flush_icacheEv.has_indirect_call, 0
	.section	.AMDGPU.csdata,"",@progbits
; Kernel info:
; codeLenInByte = 4
; TotalNumSgprs: 0
; NumVgprs: 0
; ScratchSize: 0
; MemoryBound: 0
; FloatMode: 240
; IeeeMode: 1
; LDSByteSize: 0 bytes/workgroup (compile time only)
; SGPRBlocks: 0
; VGPRBlocks: 0
; NumSGPRsForWavesPerEU: 1
; NumVGPRsForWavesPerEU: 1
; Occupancy: 16
; WaveLimiterHint : 0
; COMPUTE_PGM_RSRC2:SCRATCH_EN: 0
; COMPUTE_PGM_RSRC2:USER_SGPR: 0
; COMPUTE_PGM_RSRC2:TRAP_HANDLER: 0
; COMPUTE_PGM_RSRC2:TGID_X_EN: 1
; COMPUTE_PGM_RSRC2:TGID_Y_EN: 0
; COMPUTE_PGM_RSRC2:TGID_Z_EN: 0
; COMPUTE_PGM_RSRC2:TIDIG_COMP_CNT: 0
	.section	.text._ZN2ck27kernel_gemm_xdl_cshuffle_v2INS_28GridwiseGemm_xdl_cshuffle_v2INS_13tensor_layout4gemm8RowMajorES4_S4_DF16_DF16_fDF16_DF16_NS_16tensor_operation12element_wise11PassThroughES7_S7_LNS5_6device18GemmSpecializationE0ELNS_25InMemoryDataOperationEnumE0ELi2ELi256ELi256ELi256ELi32ELi8ELi4ELi16ELi16ELi8ELi8ENS_8SequenceIJLi4ELi64ELi1EEEENSB_IJLi1ELi0ELi2EEEESD_Li2ELi8ELi8ELb0ELi0ENSB_IJLi8ELi32ELi1EEEENSB_IJLi0ELi2ELi1EEEESF_Li1ELi8ELi4ELb0ELi0ELi1ELi1ENSB_IJLi1ELi32ELi1ELi8EEEELi4ELNS_13LoopSchedulerE0ELNS_15PipelineVersionE0EDF16_DF16_EELb1ELi3EEEvNT_8ArgumentE,"axG",@progbits,_ZN2ck27kernel_gemm_xdl_cshuffle_v2INS_28GridwiseGemm_xdl_cshuffle_v2INS_13tensor_layout4gemm8RowMajorES4_S4_DF16_DF16_fDF16_DF16_NS_16tensor_operation12element_wise11PassThroughES7_S7_LNS5_6device18GemmSpecializationE0ELNS_25InMemoryDataOperationEnumE0ELi2ELi256ELi256ELi256ELi32ELi8ELi4ELi16ELi16ELi8ELi8ENS_8SequenceIJLi4ELi64ELi1EEEENSB_IJLi1ELi0ELi2EEEESD_Li2ELi8ELi8ELb0ELi0ENSB_IJLi8ELi32ELi1EEEENSB_IJLi0ELi2ELi1EEEESF_Li1ELi8ELi4ELb0ELi0ELi1ELi1ENSB_IJLi1ELi32ELi1ELi8EEEELi4ELNS_13LoopSchedulerE0ELNS_15PipelineVersionE0EDF16_DF16_EELb1ELi3EEEvNT_8ArgumentE,comdat
	.protected	_ZN2ck27kernel_gemm_xdl_cshuffle_v2INS_28GridwiseGemm_xdl_cshuffle_v2INS_13tensor_layout4gemm8RowMajorES4_S4_DF16_DF16_fDF16_DF16_NS_16tensor_operation12element_wise11PassThroughES7_S7_LNS5_6device18GemmSpecializationE0ELNS_25InMemoryDataOperationEnumE0ELi2ELi256ELi256ELi256ELi32ELi8ELi4ELi16ELi16ELi8ELi8ENS_8SequenceIJLi4ELi64ELi1EEEENSB_IJLi1ELi0ELi2EEEESD_Li2ELi8ELi8ELb0ELi0ENSB_IJLi8ELi32ELi1EEEENSB_IJLi0ELi2ELi1EEEESF_Li1ELi8ELi4ELb0ELi0ELi1ELi1ENSB_IJLi1ELi32ELi1ELi8EEEELi4ELNS_13LoopSchedulerE0ELNS_15PipelineVersionE0EDF16_DF16_EELb1ELi3EEEvNT_8ArgumentE ; -- Begin function _ZN2ck27kernel_gemm_xdl_cshuffle_v2INS_28GridwiseGemm_xdl_cshuffle_v2INS_13tensor_layout4gemm8RowMajorES4_S4_DF16_DF16_fDF16_DF16_NS_16tensor_operation12element_wise11PassThroughES7_S7_LNS5_6device18GemmSpecializationE0ELNS_25InMemoryDataOperationEnumE0ELi2ELi256ELi256ELi256ELi32ELi8ELi4ELi16ELi16ELi8ELi8ENS_8SequenceIJLi4ELi64ELi1EEEENSB_IJLi1ELi0ELi2EEEESD_Li2ELi8ELi8ELb0ELi0ENSB_IJLi8ELi32ELi1EEEENSB_IJLi0ELi2ELi1EEEESF_Li1ELi8ELi4ELb0ELi0ELi1ELi1ENSB_IJLi1ELi32ELi1ELi8EEEELi4ELNS_13LoopSchedulerE0ELNS_15PipelineVersionE0EDF16_DF16_EELb1ELi3EEEvNT_8ArgumentE
	.globl	_ZN2ck27kernel_gemm_xdl_cshuffle_v2INS_28GridwiseGemm_xdl_cshuffle_v2INS_13tensor_layout4gemm8RowMajorES4_S4_DF16_DF16_fDF16_DF16_NS_16tensor_operation12element_wise11PassThroughES7_S7_LNS5_6device18GemmSpecializationE0ELNS_25InMemoryDataOperationEnumE0ELi2ELi256ELi256ELi256ELi32ELi8ELi4ELi16ELi16ELi8ELi8ENS_8SequenceIJLi4ELi64ELi1EEEENSB_IJLi1ELi0ELi2EEEESD_Li2ELi8ELi8ELb0ELi0ENSB_IJLi8ELi32ELi1EEEENSB_IJLi0ELi2ELi1EEEESF_Li1ELi8ELi4ELb0ELi0ELi1ELi1ENSB_IJLi1ELi32ELi1ELi8EEEELi4ELNS_13LoopSchedulerE0ELNS_15PipelineVersionE0EDF16_DF16_EELb1ELi3EEEvNT_8ArgumentE
	.p2align	8
	.type	_ZN2ck27kernel_gemm_xdl_cshuffle_v2INS_28GridwiseGemm_xdl_cshuffle_v2INS_13tensor_layout4gemm8RowMajorES4_S4_DF16_DF16_fDF16_DF16_NS_16tensor_operation12element_wise11PassThroughES7_S7_LNS5_6device18GemmSpecializationE0ELNS_25InMemoryDataOperationEnumE0ELi2ELi256ELi256ELi256ELi32ELi8ELi4ELi16ELi16ELi8ELi8ENS_8SequenceIJLi4ELi64ELi1EEEENSB_IJLi1ELi0ELi2EEEESD_Li2ELi8ELi8ELb0ELi0ENSB_IJLi8ELi32ELi1EEEENSB_IJLi0ELi2ELi1EEEESF_Li1ELi8ELi4ELb0ELi0ELi1ELi1ENSB_IJLi1ELi32ELi1ELi8EEEELi4ELNS_13LoopSchedulerE0ELNS_15PipelineVersionE0EDF16_DF16_EELb1ELi3EEEvNT_8ArgumentE,@function
_ZN2ck27kernel_gemm_xdl_cshuffle_v2INS_28GridwiseGemm_xdl_cshuffle_v2INS_13tensor_layout4gemm8RowMajorES4_S4_DF16_DF16_fDF16_DF16_NS_16tensor_operation12element_wise11PassThroughES7_S7_LNS5_6device18GemmSpecializationE0ELNS_25InMemoryDataOperationEnumE0ELi2ELi256ELi256ELi256ELi32ELi8ELi4ELi16ELi16ELi8ELi8ENS_8SequenceIJLi4ELi64ELi1EEEENSB_IJLi1ELi0ELi2EEEESD_Li2ELi8ELi8ELb0ELi0ENSB_IJLi8ELi32ELi1EEEENSB_IJLi0ELi2ELi1EEEESF_Li1ELi8ELi4ELb0ELi0ELi1ELi1ENSB_IJLi1ELi32ELi1ELi8EEEELi4ELNS_13LoopSchedulerE0ELNS_15PipelineVersionE0EDF16_DF16_EELb1ELi3EEEvNT_8ArgumentE: ; @_ZN2ck27kernel_gemm_xdl_cshuffle_v2INS_28GridwiseGemm_xdl_cshuffle_v2INS_13tensor_layout4gemm8RowMajorES4_S4_DF16_DF16_fDF16_DF16_NS_16tensor_operation12element_wise11PassThroughES7_S7_LNS5_6device18GemmSpecializationE0ELNS_25InMemoryDataOperationEnumE0ELi2ELi256ELi256ELi256ELi32ELi8ELi4ELi16ELi16ELi8ELi8ENS_8SequenceIJLi4ELi64ELi1EEEENSB_IJLi1ELi0ELi2EEEESD_Li2ELi8ELi8ELb0ELi0ENSB_IJLi8ELi32ELi1EEEENSB_IJLi0ELi2ELi1EEEESF_Li1ELi8ELi4ELb0ELi0ELi1ELi1ENSB_IJLi1ELi32ELi1ELi8EEEELi4ELNS_13LoopSchedulerE0ELNS_15PipelineVersionE0EDF16_DF16_EELb1ELi3EEEvNT_8ArgumentE
; %bb.0:
	s_endpgm
	.section	.rodata,"a",@progbits
	.p2align	6, 0x0
	.amdhsa_kernel _ZN2ck27kernel_gemm_xdl_cshuffle_v2INS_28GridwiseGemm_xdl_cshuffle_v2INS_13tensor_layout4gemm8RowMajorES4_S4_DF16_DF16_fDF16_DF16_NS_16tensor_operation12element_wise11PassThroughES7_S7_LNS5_6device18GemmSpecializationE0ELNS_25InMemoryDataOperationEnumE0ELi2ELi256ELi256ELi256ELi32ELi8ELi4ELi16ELi16ELi8ELi8ENS_8SequenceIJLi4ELi64ELi1EEEENSB_IJLi1ELi0ELi2EEEESD_Li2ELi8ELi8ELb0ELi0ENSB_IJLi8ELi32ELi1EEEENSB_IJLi0ELi2ELi1EEEESF_Li1ELi8ELi4ELb0ELi0ELi1ELi1ENSB_IJLi1ELi32ELi1ELi8EEEELi4ELNS_13LoopSchedulerE0ELNS_15PipelineVersionE0EDF16_DF16_EELb1ELi3EEEvNT_8ArgumentE
		.amdhsa_group_segment_fixed_size 0
		.amdhsa_private_segment_fixed_size 0
		.amdhsa_kernarg_size 96
		.amdhsa_user_sgpr_count 2
		.amdhsa_user_sgpr_dispatch_ptr 0
		.amdhsa_user_sgpr_queue_ptr 0
		.amdhsa_user_sgpr_kernarg_segment_ptr 1
		.amdhsa_user_sgpr_dispatch_id 0
		.amdhsa_user_sgpr_private_segment_size 0
		.amdhsa_wavefront_size32 1
		.amdhsa_uses_dynamic_stack 0
		.amdhsa_enable_private_segment 0
		.amdhsa_system_sgpr_workgroup_id_x 1
		.amdhsa_system_sgpr_workgroup_id_y 0
		.amdhsa_system_sgpr_workgroup_id_z 0
		.amdhsa_system_sgpr_workgroup_info 0
		.amdhsa_system_vgpr_workitem_id 0
		.amdhsa_next_free_vgpr 1
		.amdhsa_next_free_sgpr 1
		.amdhsa_reserve_vcc 0
		.amdhsa_float_round_mode_32 0
		.amdhsa_float_round_mode_16_64 0
		.amdhsa_float_denorm_mode_32 3
		.amdhsa_float_denorm_mode_16_64 3
		.amdhsa_fp16_overflow 0
		.amdhsa_workgroup_processor_mode 1
		.amdhsa_memory_ordered 1
		.amdhsa_forward_progress 1
		.amdhsa_inst_pref_size 1
		.amdhsa_round_robin_scheduling 0
		.amdhsa_exception_fp_ieee_invalid_op 0
		.amdhsa_exception_fp_denorm_src 0
		.amdhsa_exception_fp_ieee_div_zero 0
		.amdhsa_exception_fp_ieee_overflow 0
		.amdhsa_exception_fp_ieee_underflow 0
		.amdhsa_exception_fp_ieee_inexact 0
		.amdhsa_exception_int_div_zero 0
	.end_amdhsa_kernel
	.section	.text._ZN2ck27kernel_gemm_xdl_cshuffle_v2INS_28GridwiseGemm_xdl_cshuffle_v2INS_13tensor_layout4gemm8RowMajorES4_S4_DF16_DF16_fDF16_DF16_NS_16tensor_operation12element_wise11PassThroughES7_S7_LNS5_6device18GemmSpecializationE0ELNS_25InMemoryDataOperationEnumE0ELi2ELi256ELi256ELi256ELi32ELi8ELi4ELi16ELi16ELi8ELi8ENS_8SequenceIJLi4ELi64ELi1EEEENSB_IJLi1ELi0ELi2EEEESD_Li2ELi8ELi8ELb0ELi0ENSB_IJLi8ELi32ELi1EEEENSB_IJLi0ELi2ELi1EEEESF_Li1ELi8ELi4ELb0ELi0ELi1ELi1ENSB_IJLi1ELi32ELi1ELi8EEEELi4ELNS_13LoopSchedulerE0ELNS_15PipelineVersionE0EDF16_DF16_EELb1ELi3EEEvNT_8ArgumentE,"axG",@progbits,_ZN2ck27kernel_gemm_xdl_cshuffle_v2INS_28GridwiseGemm_xdl_cshuffle_v2INS_13tensor_layout4gemm8RowMajorES4_S4_DF16_DF16_fDF16_DF16_NS_16tensor_operation12element_wise11PassThroughES7_S7_LNS5_6device18GemmSpecializationE0ELNS_25InMemoryDataOperationEnumE0ELi2ELi256ELi256ELi256ELi32ELi8ELi4ELi16ELi16ELi8ELi8ENS_8SequenceIJLi4ELi64ELi1EEEENSB_IJLi1ELi0ELi2EEEESD_Li2ELi8ELi8ELb0ELi0ENSB_IJLi8ELi32ELi1EEEENSB_IJLi0ELi2ELi1EEEESF_Li1ELi8ELi4ELb0ELi0ELi1ELi1ENSB_IJLi1ELi32ELi1ELi8EEEELi4ELNS_13LoopSchedulerE0ELNS_15PipelineVersionE0EDF16_DF16_EELb1ELi3EEEvNT_8ArgumentE,comdat
.Lfunc_end1:
	.size	_ZN2ck27kernel_gemm_xdl_cshuffle_v2INS_28GridwiseGemm_xdl_cshuffle_v2INS_13tensor_layout4gemm8RowMajorES4_S4_DF16_DF16_fDF16_DF16_NS_16tensor_operation12element_wise11PassThroughES7_S7_LNS5_6device18GemmSpecializationE0ELNS_25InMemoryDataOperationEnumE0ELi2ELi256ELi256ELi256ELi32ELi8ELi4ELi16ELi16ELi8ELi8ENS_8SequenceIJLi4ELi64ELi1EEEENSB_IJLi1ELi0ELi2EEEESD_Li2ELi8ELi8ELb0ELi0ENSB_IJLi8ELi32ELi1EEEENSB_IJLi0ELi2ELi1EEEESF_Li1ELi8ELi4ELb0ELi0ELi1ELi1ENSB_IJLi1ELi32ELi1ELi8EEEELi4ELNS_13LoopSchedulerE0ELNS_15PipelineVersionE0EDF16_DF16_EELb1ELi3EEEvNT_8ArgumentE, .Lfunc_end1-_ZN2ck27kernel_gemm_xdl_cshuffle_v2INS_28GridwiseGemm_xdl_cshuffle_v2INS_13tensor_layout4gemm8RowMajorES4_S4_DF16_DF16_fDF16_DF16_NS_16tensor_operation12element_wise11PassThroughES7_S7_LNS5_6device18GemmSpecializationE0ELNS_25InMemoryDataOperationEnumE0ELi2ELi256ELi256ELi256ELi32ELi8ELi4ELi16ELi16ELi8ELi8ENS_8SequenceIJLi4ELi64ELi1EEEENSB_IJLi1ELi0ELi2EEEESD_Li2ELi8ELi8ELb0ELi0ENSB_IJLi8ELi32ELi1EEEENSB_IJLi0ELi2ELi1EEEESF_Li1ELi8ELi4ELb0ELi0ELi1ELi1ENSB_IJLi1ELi32ELi1ELi8EEEELi4ELNS_13LoopSchedulerE0ELNS_15PipelineVersionE0EDF16_DF16_EELb1ELi3EEEvNT_8ArgumentE
                                        ; -- End function
	.set _ZN2ck27kernel_gemm_xdl_cshuffle_v2INS_28GridwiseGemm_xdl_cshuffle_v2INS_13tensor_layout4gemm8RowMajorES4_S4_DF16_DF16_fDF16_DF16_NS_16tensor_operation12element_wise11PassThroughES7_S7_LNS5_6device18GemmSpecializationE0ELNS_25InMemoryDataOperationEnumE0ELi2ELi256ELi256ELi256ELi32ELi8ELi4ELi16ELi16ELi8ELi8ENS_8SequenceIJLi4ELi64ELi1EEEENSB_IJLi1ELi0ELi2EEEESD_Li2ELi8ELi8ELb0ELi0ENSB_IJLi8ELi32ELi1EEEENSB_IJLi0ELi2ELi1EEEESF_Li1ELi8ELi4ELb0ELi0ELi1ELi1ENSB_IJLi1ELi32ELi1ELi8EEEELi4ELNS_13LoopSchedulerE0ELNS_15PipelineVersionE0EDF16_DF16_EELb1ELi3EEEvNT_8ArgumentE.num_vgpr, 0
	.set _ZN2ck27kernel_gemm_xdl_cshuffle_v2INS_28GridwiseGemm_xdl_cshuffle_v2INS_13tensor_layout4gemm8RowMajorES4_S4_DF16_DF16_fDF16_DF16_NS_16tensor_operation12element_wise11PassThroughES7_S7_LNS5_6device18GemmSpecializationE0ELNS_25InMemoryDataOperationEnumE0ELi2ELi256ELi256ELi256ELi32ELi8ELi4ELi16ELi16ELi8ELi8ENS_8SequenceIJLi4ELi64ELi1EEEENSB_IJLi1ELi0ELi2EEEESD_Li2ELi8ELi8ELb0ELi0ENSB_IJLi8ELi32ELi1EEEENSB_IJLi0ELi2ELi1EEEESF_Li1ELi8ELi4ELb0ELi0ELi1ELi1ENSB_IJLi1ELi32ELi1ELi8EEEELi4ELNS_13LoopSchedulerE0ELNS_15PipelineVersionE0EDF16_DF16_EELb1ELi3EEEvNT_8ArgumentE.num_agpr, 0
	.set _ZN2ck27kernel_gemm_xdl_cshuffle_v2INS_28GridwiseGemm_xdl_cshuffle_v2INS_13tensor_layout4gemm8RowMajorES4_S4_DF16_DF16_fDF16_DF16_NS_16tensor_operation12element_wise11PassThroughES7_S7_LNS5_6device18GemmSpecializationE0ELNS_25InMemoryDataOperationEnumE0ELi2ELi256ELi256ELi256ELi32ELi8ELi4ELi16ELi16ELi8ELi8ENS_8SequenceIJLi4ELi64ELi1EEEENSB_IJLi1ELi0ELi2EEEESD_Li2ELi8ELi8ELb0ELi0ENSB_IJLi8ELi32ELi1EEEENSB_IJLi0ELi2ELi1EEEESF_Li1ELi8ELi4ELb0ELi0ELi1ELi1ENSB_IJLi1ELi32ELi1ELi8EEEELi4ELNS_13LoopSchedulerE0ELNS_15PipelineVersionE0EDF16_DF16_EELb1ELi3EEEvNT_8ArgumentE.numbered_sgpr, 0
	.set _ZN2ck27kernel_gemm_xdl_cshuffle_v2INS_28GridwiseGemm_xdl_cshuffle_v2INS_13tensor_layout4gemm8RowMajorES4_S4_DF16_DF16_fDF16_DF16_NS_16tensor_operation12element_wise11PassThroughES7_S7_LNS5_6device18GemmSpecializationE0ELNS_25InMemoryDataOperationEnumE0ELi2ELi256ELi256ELi256ELi32ELi8ELi4ELi16ELi16ELi8ELi8ENS_8SequenceIJLi4ELi64ELi1EEEENSB_IJLi1ELi0ELi2EEEESD_Li2ELi8ELi8ELb0ELi0ENSB_IJLi8ELi32ELi1EEEENSB_IJLi0ELi2ELi1EEEESF_Li1ELi8ELi4ELb0ELi0ELi1ELi1ENSB_IJLi1ELi32ELi1ELi8EEEELi4ELNS_13LoopSchedulerE0ELNS_15PipelineVersionE0EDF16_DF16_EELb1ELi3EEEvNT_8ArgumentE.num_named_barrier, 0
	.set _ZN2ck27kernel_gemm_xdl_cshuffle_v2INS_28GridwiseGemm_xdl_cshuffle_v2INS_13tensor_layout4gemm8RowMajorES4_S4_DF16_DF16_fDF16_DF16_NS_16tensor_operation12element_wise11PassThroughES7_S7_LNS5_6device18GemmSpecializationE0ELNS_25InMemoryDataOperationEnumE0ELi2ELi256ELi256ELi256ELi32ELi8ELi4ELi16ELi16ELi8ELi8ENS_8SequenceIJLi4ELi64ELi1EEEENSB_IJLi1ELi0ELi2EEEESD_Li2ELi8ELi8ELb0ELi0ENSB_IJLi8ELi32ELi1EEEENSB_IJLi0ELi2ELi1EEEESF_Li1ELi8ELi4ELb0ELi0ELi1ELi1ENSB_IJLi1ELi32ELi1ELi8EEEELi4ELNS_13LoopSchedulerE0ELNS_15PipelineVersionE0EDF16_DF16_EELb1ELi3EEEvNT_8ArgumentE.private_seg_size, 0
	.set _ZN2ck27kernel_gemm_xdl_cshuffle_v2INS_28GridwiseGemm_xdl_cshuffle_v2INS_13tensor_layout4gemm8RowMajorES4_S4_DF16_DF16_fDF16_DF16_NS_16tensor_operation12element_wise11PassThroughES7_S7_LNS5_6device18GemmSpecializationE0ELNS_25InMemoryDataOperationEnumE0ELi2ELi256ELi256ELi256ELi32ELi8ELi4ELi16ELi16ELi8ELi8ENS_8SequenceIJLi4ELi64ELi1EEEENSB_IJLi1ELi0ELi2EEEESD_Li2ELi8ELi8ELb0ELi0ENSB_IJLi8ELi32ELi1EEEENSB_IJLi0ELi2ELi1EEEESF_Li1ELi8ELi4ELb0ELi0ELi1ELi1ENSB_IJLi1ELi32ELi1ELi8EEEELi4ELNS_13LoopSchedulerE0ELNS_15PipelineVersionE0EDF16_DF16_EELb1ELi3EEEvNT_8ArgumentE.uses_vcc, 0
	.set _ZN2ck27kernel_gemm_xdl_cshuffle_v2INS_28GridwiseGemm_xdl_cshuffle_v2INS_13tensor_layout4gemm8RowMajorES4_S4_DF16_DF16_fDF16_DF16_NS_16tensor_operation12element_wise11PassThroughES7_S7_LNS5_6device18GemmSpecializationE0ELNS_25InMemoryDataOperationEnumE0ELi2ELi256ELi256ELi256ELi32ELi8ELi4ELi16ELi16ELi8ELi8ENS_8SequenceIJLi4ELi64ELi1EEEENSB_IJLi1ELi0ELi2EEEESD_Li2ELi8ELi8ELb0ELi0ENSB_IJLi8ELi32ELi1EEEENSB_IJLi0ELi2ELi1EEEESF_Li1ELi8ELi4ELb0ELi0ELi1ELi1ENSB_IJLi1ELi32ELi1ELi8EEEELi4ELNS_13LoopSchedulerE0ELNS_15PipelineVersionE0EDF16_DF16_EELb1ELi3EEEvNT_8ArgumentE.uses_flat_scratch, 0
	.set _ZN2ck27kernel_gemm_xdl_cshuffle_v2INS_28GridwiseGemm_xdl_cshuffle_v2INS_13tensor_layout4gemm8RowMajorES4_S4_DF16_DF16_fDF16_DF16_NS_16tensor_operation12element_wise11PassThroughES7_S7_LNS5_6device18GemmSpecializationE0ELNS_25InMemoryDataOperationEnumE0ELi2ELi256ELi256ELi256ELi32ELi8ELi4ELi16ELi16ELi8ELi8ENS_8SequenceIJLi4ELi64ELi1EEEENSB_IJLi1ELi0ELi2EEEESD_Li2ELi8ELi8ELb0ELi0ENSB_IJLi8ELi32ELi1EEEENSB_IJLi0ELi2ELi1EEEESF_Li1ELi8ELi4ELb0ELi0ELi1ELi1ENSB_IJLi1ELi32ELi1ELi8EEEELi4ELNS_13LoopSchedulerE0ELNS_15PipelineVersionE0EDF16_DF16_EELb1ELi3EEEvNT_8ArgumentE.has_dyn_sized_stack, 0
	.set _ZN2ck27kernel_gemm_xdl_cshuffle_v2INS_28GridwiseGemm_xdl_cshuffle_v2INS_13tensor_layout4gemm8RowMajorES4_S4_DF16_DF16_fDF16_DF16_NS_16tensor_operation12element_wise11PassThroughES7_S7_LNS5_6device18GemmSpecializationE0ELNS_25InMemoryDataOperationEnumE0ELi2ELi256ELi256ELi256ELi32ELi8ELi4ELi16ELi16ELi8ELi8ENS_8SequenceIJLi4ELi64ELi1EEEENSB_IJLi1ELi0ELi2EEEESD_Li2ELi8ELi8ELb0ELi0ENSB_IJLi8ELi32ELi1EEEENSB_IJLi0ELi2ELi1EEEESF_Li1ELi8ELi4ELb0ELi0ELi1ELi1ENSB_IJLi1ELi32ELi1ELi8EEEELi4ELNS_13LoopSchedulerE0ELNS_15PipelineVersionE0EDF16_DF16_EELb1ELi3EEEvNT_8ArgumentE.has_recursion, 0
	.set _ZN2ck27kernel_gemm_xdl_cshuffle_v2INS_28GridwiseGemm_xdl_cshuffle_v2INS_13tensor_layout4gemm8RowMajorES4_S4_DF16_DF16_fDF16_DF16_NS_16tensor_operation12element_wise11PassThroughES7_S7_LNS5_6device18GemmSpecializationE0ELNS_25InMemoryDataOperationEnumE0ELi2ELi256ELi256ELi256ELi32ELi8ELi4ELi16ELi16ELi8ELi8ENS_8SequenceIJLi4ELi64ELi1EEEENSB_IJLi1ELi0ELi2EEEESD_Li2ELi8ELi8ELb0ELi0ENSB_IJLi8ELi32ELi1EEEENSB_IJLi0ELi2ELi1EEEESF_Li1ELi8ELi4ELb0ELi0ELi1ELi1ENSB_IJLi1ELi32ELi1ELi8EEEELi4ELNS_13LoopSchedulerE0ELNS_15PipelineVersionE0EDF16_DF16_EELb1ELi3EEEvNT_8ArgumentE.has_indirect_call, 0
	.section	.AMDGPU.csdata,"",@progbits
; Kernel info:
; codeLenInByte = 4
; TotalNumSgprs: 0
; NumVgprs: 0
; ScratchSize: 0
; MemoryBound: 0
; FloatMode: 240
; IeeeMode: 1
; LDSByteSize: 0 bytes/workgroup (compile time only)
; SGPRBlocks: 0
; VGPRBlocks: 0
; NumSGPRsForWavesPerEU: 1
; NumVGPRsForWavesPerEU: 1
; Occupancy: 16
; WaveLimiterHint : 0
; COMPUTE_PGM_RSRC2:SCRATCH_EN: 0
; COMPUTE_PGM_RSRC2:USER_SGPR: 2
; COMPUTE_PGM_RSRC2:TRAP_HANDLER: 0
; COMPUTE_PGM_RSRC2:TGID_X_EN: 1
; COMPUTE_PGM_RSRC2:TGID_Y_EN: 0
; COMPUTE_PGM_RSRC2:TGID_Z_EN: 0
; COMPUTE_PGM_RSRC2:TIDIG_COMP_CNT: 0
	.section	.text._ZN2ck27kernel_gemm_xdl_cshuffle_v2INS_28GridwiseGemm_xdl_cshuffle_v2INS_13tensor_layout4gemm8RowMajorES4_S4_DF16_DF16_fDF16_DF16_NS_16tensor_operation12element_wise11PassThroughES7_S7_LNS5_6device18GemmSpecializationE0ELNS_25InMemoryDataOperationEnumE0ELi2ELi256ELi256ELi256ELi32ELi8ELi4ELi16ELi16ELi8ELi8ENS_8SequenceIJLi4ELi64ELi1EEEENSB_IJLi1ELi0ELi2EEEESD_Li2ELi8ELi8ELb0ELi0ENSB_IJLi8ELi32ELi1EEEENSB_IJLi0ELi2ELi1EEEESF_Li1ELi8ELi4ELb0ELi0ELi1ELi1ENSB_IJLi1ELi32ELi1ELi8EEEELi4ELNS_13LoopSchedulerE0ELNS_15PipelineVersionE0EDF16_DF16_EELb1ELi2EEEvNT_8ArgumentE,"axG",@progbits,_ZN2ck27kernel_gemm_xdl_cshuffle_v2INS_28GridwiseGemm_xdl_cshuffle_v2INS_13tensor_layout4gemm8RowMajorES4_S4_DF16_DF16_fDF16_DF16_NS_16tensor_operation12element_wise11PassThroughES7_S7_LNS5_6device18GemmSpecializationE0ELNS_25InMemoryDataOperationEnumE0ELi2ELi256ELi256ELi256ELi32ELi8ELi4ELi16ELi16ELi8ELi8ENS_8SequenceIJLi4ELi64ELi1EEEENSB_IJLi1ELi0ELi2EEEESD_Li2ELi8ELi8ELb0ELi0ENSB_IJLi8ELi32ELi1EEEENSB_IJLi0ELi2ELi1EEEESF_Li1ELi8ELi4ELb0ELi0ELi1ELi1ENSB_IJLi1ELi32ELi1ELi8EEEELi4ELNS_13LoopSchedulerE0ELNS_15PipelineVersionE0EDF16_DF16_EELb1ELi2EEEvNT_8ArgumentE,comdat
	.protected	_ZN2ck27kernel_gemm_xdl_cshuffle_v2INS_28GridwiseGemm_xdl_cshuffle_v2INS_13tensor_layout4gemm8RowMajorES4_S4_DF16_DF16_fDF16_DF16_NS_16tensor_operation12element_wise11PassThroughES7_S7_LNS5_6device18GemmSpecializationE0ELNS_25InMemoryDataOperationEnumE0ELi2ELi256ELi256ELi256ELi32ELi8ELi4ELi16ELi16ELi8ELi8ENS_8SequenceIJLi4ELi64ELi1EEEENSB_IJLi1ELi0ELi2EEEESD_Li2ELi8ELi8ELb0ELi0ENSB_IJLi8ELi32ELi1EEEENSB_IJLi0ELi2ELi1EEEESF_Li1ELi8ELi4ELb0ELi0ELi1ELi1ENSB_IJLi1ELi32ELi1ELi8EEEELi4ELNS_13LoopSchedulerE0ELNS_15PipelineVersionE0EDF16_DF16_EELb1ELi2EEEvNT_8ArgumentE ; -- Begin function _ZN2ck27kernel_gemm_xdl_cshuffle_v2INS_28GridwiseGemm_xdl_cshuffle_v2INS_13tensor_layout4gemm8RowMajorES4_S4_DF16_DF16_fDF16_DF16_NS_16tensor_operation12element_wise11PassThroughES7_S7_LNS5_6device18GemmSpecializationE0ELNS_25InMemoryDataOperationEnumE0ELi2ELi256ELi256ELi256ELi32ELi8ELi4ELi16ELi16ELi8ELi8ENS_8SequenceIJLi4ELi64ELi1EEEENSB_IJLi1ELi0ELi2EEEESD_Li2ELi8ELi8ELb0ELi0ENSB_IJLi8ELi32ELi1EEEENSB_IJLi0ELi2ELi1EEEESF_Li1ELi8ELi4ELb0ELi0ELi1ELi1ENSB_IJLi1ELi32ELi1ELi8EEEELi4ELNS_13LoopSchedulerE0ELNS_15PipelineVersionE0EDF16_DF16_EELb1ELi2EEEvNT_8ArgumentE
	.globl	_ZN2ck27kernel_gemm_xdl_cshuffle_v2INS_28GridwiseGemm_xdl_cshuffle_v2INS_13tensor_layout4gemm8RowMajorES4_S4_DF16_DF16_fDF16_DF16_NS_16tensor_operation12element_wise11PassThroughES7_S7_LNS5_6device18GemmSpecializationE0ELNS_25InMemoryDataOperationEnumE0ELi2ELi256ELi256ELi256ELi32ELi8ELi4ELi16ELi16ELi8ELi8ENS_8SequenceIJLi4ELi64ELi1EEEENSB_IJLi1ELi0ELi2EEEESD_Li2ELi8ELi8ELb0ELi0ENSB_IJLi8ELi32ELi1EEEENSB_IJLi0ELi2ELi1EEEESF_Li1ELi8ELi4ELb0ELi0ELi1ELi1ENSB_IJLi1ELi32ELi1ELi8EEEELi4ELNS_13LoopSchedulerE0ELNS_15PipelineVersionE0EDF16_DF16_EELb1ELi2EEEvNT_8ArgumentE
	.p2align	8
	.type	_ZN2ck27kernel_gemm_xdl_cshuffle_v2INS_28GridwiseGemm_xdl_cshuffle_v2INS_13tensor_layout4gemm8RowMajorES4_S4_DF16_DF16_fDF16_DF16_NS_16tensor_operation12element_wise11PassThroughES7_S7_LNS5_6device18GemmSpecializationE0ELNS_25InMemoryDataOperationEnumE0ELi2ELi256ELi256ELi256ELi32ELi8ELi4ELi16ELi16ELi8ELi8ENS_8SequenceIJLi4ELi64ELi1EEEENSB_IJLi1ELi0ELi2EEEESD_Li2ELi8ELi8ELb0ELi0ENSB_IJLi8ELi32ELi1EEEENSB_IJLi0ELi2ELi1EEEESF_Li1ELi8ELi4ELb0ELi0ELi1ELi1ENSB_IJLi1ELi32ELi1ELi8EEEELi4ELNS_13LoopSchedulerE0ELNS_15PipelineVersionE0EDF16_DF16_EELb1ELi2EEEvNT_8ArgumentE,@function
_ZN2ck27kernel_gemm_xdl_cshuffle_v2INS_28GridwiseGemm_xdl_cshuffle_v2INS_13tensor_layout4gemm8RowMajorES4_S4_DF16_DF16_fDF16_DF16_NS_16tensor_operation12element_wise11PassThroughES7_S7_LNS5_6device18GemmSpecializationE0ELNS_25InMemoryDataOperationEnumE0ELi2ELi256ELi256ELi256ELi32ELi8ELi4ELi16ELi16ELi8ELi8ENS_8SequenceIJLi4ELi64ELi1EEEENSB_IJLi1ELi0ELi2EEEESD_Li2ELi8ELi8ELb0ELi0ENSB_IJLi8ELi32ELi1EEEENSB_IJLi0ELi2ELi1EEEESF_Li1ELi8ELi4ELb0ELi0ELi1ELi1ENSB_IJLi1ELi32ELi1ELi8EEEELi4ELNS_13LoopSchedulerE0ELNS_15PipelineVersionE0EDF16_DF16_EELb1ELi2EEEvNT_8ArgumentE: ; @_ZN2ck27kernel_gemm_xdl_cshuffle_v2INS_28GridwiseGemm_xdl_cshuffle_v2INS_13tensor_layout4gemm8RowMajorES4_S4_DF16_DF16_fDF16_DF16_NS_16tensor_operation12element_wise11PassThroughES7_S7_LNS5_6device18GemmSpecializationE0ELNS_25InMemoryDataOperationEnumE0ELi2ELi256ELi256ELi256ELi32ELi8ELi4ELi16ELi16ELi8ELi8ENS_8SequenceIJLi4ELi64ELi1EEEENSB_IJLi1ELi0ELi2EEEESD_Li2ELi8ELi8ELb0ELi0ENSB_IJLi8ELi32ELi1EEEENSB_IJLi0ELi2ELi1EEEESF_Li1ELi8ELi4ELb0ELi0ELi1ELi1ENSB_IJLi1ELi32ELi1ELi8EEEELi4ELNS_13LoopSchedulerE0ELNS_15PipelineVersionE0EDF16_DF16_EELb1ELi2EEEvNT_8ArgumentE
; %bb.0:
	s_endpgm
	.section	.rodata,"a",@progbits
	.p2align	6, 0x0
	.amdhsa_kernel _ZN2ck27kernel_gemm_xdl_cshuffle_v2INS_28GridwiseGemm_xdl_cshuffle_v2INS_13tensor_layout4gemm8RowMajorES4_S4_DF16_DF16_fDF16_DF16_NS_16tensor_operation12element_wise11PassThroughES7_S7_LNS5_6device18GemmSpecializationE0ELNS_25InMemoryDataOperationEnumE0ELi2ELi256ELi256ELi256ELi32ELi8ELi4ELi16ELi16ELi8ELi8ENS_8SequenceIJLi4ELi64ELi1EEEENSB_IJLi1ELi0ELi2EEEESD_Li2ELi8ELi8ELb0ELi0ENSB_IJLi8ELi32ELi1EEEENSB_IJLi0ELi2ELi1EEEESF_Li1ELi8ELi4ELb0ELi0ELi1ELi1ENSB_IJLi1ELi32ELi1ELi8EEEELi4ELNS_13LoopSchedulerE0ELNS_15PipelineVersionE0EDF16_DF16_EELb1ELi2EEEvNT_8ArgumentE
		.amdhsa_group_segment_fixed_size 0
		.amdhsa_private_segment_fixed_size 0
		.amdhsa_kernarg_size 96
		.amdhsa_user_sgpr_count 2
		.amdhsa_user_sgpr_dispatch_ptr 0
		.amdhsa_user_sgpr_queue_ptr 0
		.amdhsa_user_sgpr_kernarg_segment_ptr 1
		.amdhsa_user_sgpr_dispatch_id 0
		.amdhsa_user_sgpr_private_segment_size 0
		.amdhsa_wavefront_size32 1
		.amdhsa_uses_dynamic_stack 0
		.amdhsa_enable_private_segment 0
		.amdhsa_system_sgpr_workgroup_id_x 1
		.amdhsa_system_sgpr_workgroup_id_y 0
		.amdhsa_system_sgpr_workgroup_id_z 0
		.amdhsa_system_sgpr_workgroup_info 0
		.amdhsa_system_vgpr_workitem_id 0
		.amdhsa_next_free_vgpr 1
		.amdhsa_next_free_sgpr 1
		.amdhsa_reserve_vcc 0
		.amdhsa_float_round_mode_32 0
		.amdhsa_float_round_mode_16_64 0
		.amdhsa_float_denorm_mode_32 3
		.amdhsa_float_denorm_mode_16_64 3
		.amdhsa_fp16_overflow 0
		.amdhsa_workgroup_processor_mode 1
		.amdhsa_memory_ordered 1
		.amdhsa_forward_progress 1
		.amdhsa_inst_pref_size 1
		.amdhsa_round_robin_scheduling 0
		.amdhsa_exception_fp_ieee_invalid_op 0
		.amdhsa_exception_fp_denorm_src 0
		.amdhsa_exception_fp_ieee_div_zero 0
		.amdhsa_exception_fp_ieee_overflow 0
		.amdhsa_exception_fp_ieee_underflow 0
		.amdhsa_exception_fp_ieee_inexact 0
		.amdhsa_exception_int_div_zero 0
	.end_amdhsa_kernel
	.section	.text._ZN2ck27kernel_gemm_xdl_cshuffle_v2INS_28GridwiseGemm_xdl_cshuffle_v2INS_13tensor_layout4gemm8RowMajorES4_S4_DF16_DF16_fDF16_DF16_NS_16tensor_operation12element_wise11PassThroughES7_S7_LNS5_6device18GemmSpecializationE0ELNS_25InMemoryDataOperationEnumE0ELi2ELi256ELi256ELi256ELi32ELi8ELi4ELi16ELi16ELi8ELi8ENS_8SequenceIJLi4ELi64ELi1EEEENSB_IJLi1ELi0ELi2EEEESD_Li2ELi8ELi8ELb0ELi0ENSB_IJLi8ELi32ELi1EEEENSB_IJLi0ELi2ELi1EEEESF_Li1ELi8ELi4ELb0ELi0ELi1ELi1ENSB_IJLi1ELi32ELi1ELi8EEEELi4ELNS_13LoopSchedulerE0ELNS_15PipelineVersionE0EDF16_DF16_EELb1ELi2EEEvNT_8ArgumentE,"axG",@progbits,_ZN2ck27kernel_gemm_xdl_cshuffle_v2INS_28GridwiseGemm_xdl_cshuffle_v2INS_13tensor_layout4gemm8RowMajorES4_S4_DF16_DF16_fDF16_DF16_NS_16tensor_operation12element_wise11PassThroughES7_S7_LNS5_6device18GemmSpecializationE0ELNS_25InMemoryDataOperationEnumE0ELi2ELi256ELi256ELi256ELi32ELi8ELi4ELi16ELi16ELi8ELi8ENS_8SequenceIJLi4ELi64ELi1EEEENSB_IJLi1ELi0ELi2EEEESD_Li2ELi8ELi8ELb0ELi0ENSB_IJLi8ELi32ELi1EEEENSB_IJLi0ELi2ELi1EEEESF_Li1ELi8ELi4ELb0ELi0ELi1ELi1ENSB_IJLi1ELi32ELi1ELi8EEEELi4ELNS_13LoopSchedulerE0ELNS_15PipelineVersionE0EDF16_DF16_EELb1ELi2EEEvNT_8ArgumentE,comdat
.Lfunc_end2:
	.size	_ZN2ck27kernel_gemm_xdl_cshuffle_v2INS_28GridwiseGemm_xdl_cshuffle_v2INS_13tensor_layout4gemm8RowMajorES4_S4_DF16_DF16_fDF16_DF16_NS_16tensor_operation12element_wise11PassThroughES7_S7_LNS5_6device18GemmSpecializationE0ELNS_25InMemoryDataOperationEnumE0ELi2ELi256ELi256ELi256ELi32ELi8ELi4ELi16ELi16ELi8ELi8ENS_8SequenceIJLi4ELi64ELi1EEEENSB_IJLi1ELi0ELi2EEEESD_Li2ELi8ELi8ELb0ELi0ENSB_IJLi8ELi32ELi1EEEENSB_IJLi0ELi2ELi1EEEESF_Li1ELi8ELi4ELb0ELi0ELi1ELi1ENSB_IJLi1ELi32ELi1ELi8EEEELi4ELNS_13LoopSchedulerE0ELNS_15PipelineVersionE0EDF16_DF16_EELb1ELi2EEEvNT_8ArgumentE, .Lfunc_end2-_ZN2ck27kernel_gemm_xdl_cshuffle_v2INS_28GridwiseGemm_xdl_cshuffle_v2INS_13tensor_layout4gemm8RowMajorES4_S4_DF16_DF16_fDF16_DF16_NS_16tensor_operation12element_wise11PassThroughES7_S7_LNS5_6device18GemmSpecializationE0ELNS_25InMemoryDataOperationEnumE0ELi2ELi256ELi256ELi256ELi32ELi8ELi4ELi16ELi16ELi8ELi8ENS_8SequenceIJLi4ELi64ELi1EEEENSB_IJLi1ELi0ELi2EEEESD_Li2ELi8ELi8ELb0ELi0ENSB_IJLi8ELi32ELi1EEEENSB_IJLi0ELi2ELi1EEEESF_Li1ELi8ELi4ELb0ELi0ELi1ELi1ENSB_IJLi1ELi32ELi1ELi8EEEELi4ELNS_13LoopSchedulerE0ELNS_15PipelineVersionE0EDF16_DF16_EELb1ELi2EEEvNT_8ArgumentE
                                        ; -- End function
	.set _ZN2ck27kernel_gemm_xdl_cshuffle_v2INS_28GridwiseGemm_xdl_cshuffle_v2INS_13tensor_layout4gemm8RowMajorES4_S4_DF16_DF16_fDF16_DF16_NS_16tensor_operation12element_wise11PassThroughES7_S7_LNS5_6device18GemmSpecializationE0ELNS_25InMemoryDataOperationEnumE0ELi2ELi256ELi256ELi256ELi32ELi8ELi4ELi16ELi16ELi8ELi8ENS_8SequenceIJLi4ELi64ELi1EEEENSB_IJLi1ELi0ELi2EEEESD_Li2ELi8ELi8ELb0ELi0ENSB_IJLi8ELi32ELi1EEEENSB_IJLi0ELi2ELi1EEEESF_Li1ELi8ELi4ELb0ELi0ELi1ELi1ENSB_IJLi1ELi32ELi1ELi8EEEELi4ELNS_13LoopSchedulerE0ELNS_15PipelineVersionE0EDF16_DF16_EELb1ELi2EEEvNT_8ArgumentE.num_vgpr, 0
	.set _ZN2ck27kernel_gemm_xdl_cshuffle_v2INS_28GridwiseGemm_xdl_cshuffle_v2INS_13tensor_layout4gemm8RowMajorES4_S4_DF16_DF16_fDF16_DF16_NS_16tensor_operation12element_wise11PassThroughES7_S7_LNS5_6device18GemmSpecializationE0ELNS_25InMemoryDataOperationEnumE0ELi2ELi256ELi256ELi256ELi32ELi8ELi4ELi16ELi16ELi8ELi8ENS_8SequenceIJLi4ELi64ELi1EEEENSB_IJLi1ELi0ELi2EEEESD_Li2ELi8ELi8ELb0ELi0ENSB_IJLi8ELi32ELi1EEEENSB_IJLi0ELi2ELi1EEEESF_Li1ELi8ELi4ELb0ELi0ELi1ELi1ENSB_IJLi1ELi32ELi1ELi8EEEELi4ELNS_13LoopSchedulerE0ELNS_15PipelineVersionE0EDF16_DF16_EELb1ELi2EEEvNT_8ArgumentE.num_agpr, 0
	.set _ZN2ck27kernel_gemm_xdl_cshuffle_v2INS_28GridwiseGemm_xdl_cshuffle_v2INS_13tensor_layout4gemm8RowMajorES4_S4_DF16_DF16_fDF16_DF16_NS_16tensor_operation12element_wise11PassThroughES7_S7_LNS5_6device18GemmSpecializationE0ELNS_25InMemoryDataOperationEnumE0ELi2ELi256ELi256ELi256ELi32ELi8ELi4ELi16ELi16ELi8ELi8ENS_8SequenceIJLi4ELi64ELi1EEEENSB_IJLi1ELi0ELi2EEEESD_Li2ELi8ELi8ELb0ELi0ENSB_IJLi8ELi32ELi1EEEENSB_IJLi0ELi2ELi1EEEESF_Li1ELi8ELi4ELb0ELi0ELi1ELi1ENSB_IJLi1ELi32ELi1ELi8EEEELi4ELNS_13LoopSchedulerE0ELNS_15PipelineVersionE0EDF16_DF16_EELb1ELi2EEEvNT_8ArgumentE.numbered_sgpr, 0
	.set _ZN2ck27kernel_gemm_xdl_cshuffle_v2INS_28GridwiseGemm_xdl_cshuffle_v2INS_13tensor_layout4gemm8RowMajorES4_S4_DF16_DF16_fDF16_DF16_NS_16tensor_operation12element_wise11PassThroughES7_S7_LNS5_6device18GemmSpecializationE0ELNS_25InMemoryDataOperationEnumE0ELi2ELi256ELi256ELi256ELi32ELi8ELi4ELi16ELi16ELi8ELi8ENS_8SequenceIJLi4ELi64ELi1EEEENSB_IJLi1ELi0ELi2EEEESD_Li2ELi8ELi8ELb0ELi0ENSB_IJLi8ELi32ELi1EEEENSB_IJLi0ELi2ELi1EEEESF_Li1ELi8ELi4ELb0ELi0ELi1ELi1ENSB_IJLi1ELi32ELi1ELi8EEEELi4ELNS_13LoopSchedulerE0ELNS_15PipelineVersionE0EDF16_DF16_EELb1ELi2EEEvNT_8ArgumentE.num_named_barrier, 0
	.set _ZN2ck27kernel_gemm_xdl_cshuffle_v2INS_28GridwiseGemm_xdl_cshuffle_v2INS_13tensor_layout4gemm8RowMajorES4_S4_DF16_DF16_fDF16_DF16_NS_16tensor_operation12element_wise11PassThroughES7_S7_LNS5_6device18GemmSpecializationE0ELNS_25InMemoryDataOperationEnumE0ELi2ELi256ELi256ELi256ELi32ELi8ELi4ELi16ELi16ELi8ELi8ENS_8SequenceIJLi4ELi64ELi1EEEENSB_IJLi1ELi0ELi2EEEESD_Li2ELi8ELi8ELb0ELi0ENSB_IJLi8ELi32ELi1EEEENSB_IJLi0ELi2ELi1EEEESF_Li1ELi8ELi4ELb0ELi0ELi1ELi1ENSB_IJLi1ELi32ELi1ELi8EEEELi4ELNS_13LoopSchedulerE0ELNS_15PipelineVersionE0EDF16_DF16_EELb1ELi2EEEvNT_8ArgumentE.private_seg_size, 0
	.set _ZN2ck27kernel_gemm_xdl_cshuffle_v2INS_28GridwiseGemm_xdl_cshuffle_v2INS_13tensor_layout4gemm8RowMajorES4_S4_DF16_DF16_fDF16_DF16_NS_16tensor_operation12element_wise11PassThroughES7_S7_LNS5_6device18GemmSpecializationE0ELNS_25InMemoryDataOperationEnumE0ELi2ELi256ELi256ELi256ELi32ELi8ELi4ELi16ELi16ELi8ELi8ENS_8SequenceIJLi4ELi64ELi1EEEENSB_IJLi1ELi0ELi2EEEESD_Li2ELi8ELi8ELb0ELi0ENSB_IJLi8ELi32ELi1EEEENSB_IJLi0ELi2ELi1EEEESF_Li1ELi8ELi4ELb0ELi0ELi1ELi1ENSB_IJLi1ELi32ELi1ELi8EEEELi4ELNS_13LoopSchedulerE0ELNS_15PipelineVersionE0EDF16_DF16_EELb1ELi2EEEvNT_8ArgumentE.uses_vcc, 0
	.set _ZN2ck27kernel_gemm_xdl_cshuffle_v2INS_28GridwiseGemm_xdl_cshuffle_v2INS_13tensor_layout4gemm8RowMajorES4_S4_DF16_DF16_fDF16_DF16_NS_16tensor_operation12element_wise11PassThroughES7_S7_LNS5_6device18GemmSpecializationE0ELNS_25InMemoryDataOperationEnumE0ELi2ELi256ELi256ELi256ELi32ELi8ELi4ELi16ELi16ELi8ELi8ENS_8SequenceIJLi4ELi64ELi1EEEENSB_IJLi1ELi0ELi2EEEESD_Li2ELi8ELi8ELb0ELi0ENSB_IJLi8ELi32ELi1EEEENSB_IJLi0ELi2ELi1EEEESF_Li1ELi8ELi4ELb0ELi0ELi1ELi1ENSB_IJLi1ELi32ELi1ELi8EEEELi4ELNS_13LoopSchedulerE0ELNS_15PipelineVersionE0EDF16_DF16_EELb1ELi2EEEvNT_8ArgumentE.uses_flat_scratch, 0
	.set _ZN2ck27kernel_gemm_xdl_cshuffle_v2INS_28GridwiseGemm_xdl_cshuffle_v2INS_13tensor_layout4gemm8RowMajorES4_S4_DF16_DF16_fDF16_DF16_NS_16tensor_operation12element_wise11PassThroughES7_S7_LNS5_6device18GemmSpecializationE0ELNS_25InMemoryDataOperationEnumE0ELi2ELi256ELi256ELi256ELi32ELi8ELi4ELi16ELi16ELi8ELi8ENS_8SequenceIJLi4ELi64ELi1EEEENSB_IJLi1ELi0ELi2EEEESD_Li2ELi8ELi8ELb0ELi0ENSB_IJLi8ELi32ELi1EEEENSB_IJLi0ELi2ELi1EEEESF_Li1ELi8ELi4ELb0ELi0ELi1ELi1ENSB_IJLi1ELi32ELi1ELi8EEEELi4ELNS_13LoopSchedulerE0ELNS_15PipelineVersionE0EDF16_DF16_EELb1ELi2EEEvNT_8ArgumentE.has_dyn_sized_stack, 0
	.set _ZN2ck27kernel_gemm_xdl_cshuffle_v2INS_28GridwiseGemm_xdl_cshuffle_v2INS_13tensor_layout4gemm8RowMajorES4_S4_DF16_DF16_fDF16_DF16_NS_16tensor_operation12element_wise11PassThroughES7_S7_LNS5_6device18GemmSpecializationE0ELNS_25InMemoryDataOperationEnumE0ELi2ELi256ELi256ELi256ELi32ELi8ELi4ELi16ELi16ELi8ELi8ENS_8SequenceIJLi4ELi64ELi1EEEENSB_IJLi1ELi0ELi2EEEESD_Li2ELi8ELi8ELb0ELi0ENSB_IJLi8ELi32ELi1EEEENSB_IJLi0ELi2ELi1EEEESF_Li1ELi8ELi4ELb0ELi0ELi1ELi1ENSB_IJLi1ELi32ELi1ELi8EEEELi4ELNS_13LoopSchedulerE0ELNS_15PipelineVersionE0EDF16_DF16_EELb1ELi2EEEvNT_8ArgumentE.has_recursion, 0
	.set _ZN2ck27kernel_gemm_xdl_cshuffle_v2INS_28GridwiseGemm_xdl_cshuffle_v2INS_13tensor_layout4gemm8RowMajorES4_S4_DF16_DF16_fDF16_DF16_NS_16tensor_operation12element_wise11PassThroughES7_S7_LNS5_6device18GemmSpecializationE0ELNS_25InMemoryDataOperationEnumE0ELi2ELi256ELi256ELi256ELi32ELi8ELi4ELi16ELi16ELi8ELi8ENS_8SequenceIJLi4ELi64ELi1EEEENSB_IJLi1ELi0ELi2EEEESD_Li2ELi8ELi8ELb0ELi0ENSB_IJLi8ELi32ELi1EEEENSB_IJLi0ELi2ELi1EEEESF_Li1ELi8ELi4ELb0ELi0ELi1ELi1ENSB_IJLi1ELi32ELi1ELi8EEEELi4ELNS_13LoopSchedulerE0ELNS_15PipelineVersionE0EDF16_DF16_EELb1ELi2EEEvNT_8ArgumentE.has_indirect_call, 0
	.section	.AMDGPU.csdata,"",@progbits
; Kernel info:
; codeLenInByte = 4
; TotalNumSgprs: 0
; NumVgprs: 0
; ScratchSize: 0
; MemoryBound: 0
; FloatMode: 240
; IeeeMode: 1
; LDSByteSize: 0 bytes/workgroup (compile time only)
; SGPRBlocks: 0
; VGPRBlocks: 0
; NumSGPRsForWavesPerEU: 1
; NumVGPRsForWavesPerEU: 1
; Occupancy: 16
; WaveLimiterHint : 0
; COMPUTE_PGM_RSRC2:SCRATCH_EN: 0
; COMPUTE_PGM_RSRC2:USER_SGPR: 2
; COMPUTE_PGM_RSRC2:TRAP_HANDLER: 0
; COMPUTE_PGM_RSRC2:TGID_X_EN: 1
; COMPUTE_PGM_RSRC2:TGID_Y_EN: 0
; COMPUTE_PGM_RSRC2:TGID_Z_EN: 0
; COMPUTE_PGM_RSRC2:TIDIG_COMP_CNT: 0
	.section	.text._ZN2ck27kernel_gemm_xdl_cshuffle_v2INS_28GridwiseGemm_xdl_cshuffle_v2INS_13tensor_layout4gemm8RowMajorES4_S4_DF16_DF16_fDF16_DF16_NS_16tensor_operation12element_wise11PassThroughES7_S7_LNS5_6device18GemmSpecializationE0ELNS_25InMemoryDataOperationEnumE0ELi2ELi256ELi256ELi256ELi32ELi8ELi4ELi16ELi16ELi8ELi4ENS_8SequenceIJLi4ELi64ELi1EEEENSB_IJLi1ELi0ELi2EEEESD_Li2ELi8ELi8ELb0ELi0ENSB_IJLi8ELi32ELi1EEEENSB_IJLi0ELi2ELi1EEEESF_Li1ELi8ELi4ELb0ELi0ELi1ELi1ENSB_IJLi1ELi32ELi1ELi8EEEELi4ELNS_13LoopSchedulerE0ELNS_15PipelineVersionE0EDF16_DF16_EELb1ELi3EEEvNT_8ArgumentE,"axG",@progbits,_ZN2ck27kernel_gemm_xdl_cshuffle_v2INS_28GridwiseGemm_xdl_cshuffle_v2INS_13tensor_layout4gemm8RowMajorES4_S4_DF16_DF16_fDF16_DF16_NS_16tensor_operation12element_wise11PassThroughES7_S7_LNS5_6device18GemmSpecializationE0ELNS_25InMemoryDataOperationEnumE0ELi2ELi256ELi256ELi256ELi32ELi8ELi4ELi16ELi16ELi8ELi4ENS_8SequenceIJLi4ELi64ELi1EEEENSB_IJLi1ELi0ELi2EEEESD_Li2ELi8ELi8ELb0ELi0ENSB_IJLi8ELi32ELi1EEEENSB_IJLi0ELi2ELi1EEEESF_Li1ELi8ELi4ELb0ELi0ELi1ELi1ENSB_IJLi1ELi32ELi1ELi8EEEELi4ELNS_13LoopSchedulerE0ELNS_15PipelineVersionE0EDF16_DF16_EELb1ELi3EEEvNT_8ArgumentE,comdat
	.protected	_ZN2ck27kernel_gemm_xdl_cshuffle_v2INS_28GridwiseGemm_xdl_cshuffle_v2INS_13tensor_layout4gemm8RowMajorES4_S4_DF16_DF16_fDF16_DF16_NS_16tensor_operation12element_wise11PassThroughES7_S7_LNS5_6device18GemmSpecializationE0ELNS_25InMemoryDataOperationEnumE0ELi2ELi256ELi256ELi256ELi32ELi8ELi4ELi16ELi16ELi8ELi4ENS_8SequenceIJLi4ELi64ELi1EEEENSB_IJLi1ELi0ELi2EEEESD_Li2ELi8ELi8ELb0ELi0ENSB_IJLi8ELi32ELi1EEEENSB_IJLi0ELi2ELi1EEEESF_Li1ELi8ELi4ELb0ELi0ELi1ELi1ENSB_IJLi1ELi32ELi1ELi8EEEELi4ELNS_13LoopSchedulerE0ELNS_15PipelineVersionE0EDF16_DF16_EELb1ELi3EEEvNT_8ArgumentE ; -- Begin function _ZN2ck27kernel_gemm_xdl_cshuffle_v2INS_28GridwiseGemm_xdl_cshuffle_v2INS_13tensor_layout4gemm8RowMajorES4_S4_DF16_DF16_fDF16_DF16_NS_16tensor_operation12element_wise11PassThroughES7_S7_LNS5_6device18GemmSpecializationE0ELNS_25InMemoryDataOperationEnumE0ELi2ELi256ELi256ELi256ELi32ELi8ELi4ELi16ELi16ELi8ELi4ENS_8SequenceIJLi4ELi64ELi1EEEENSB_IJLi1ELi0ELi2EEEESD_Li2ELi8ELi8ELb0ELi0ENSB_IJLi8ELi32ELi1EEEENSB_IJLi0ELi2ELi1EEEESF_Li1ELi8ELi4ELb0ELi0ELi1ELi1ENSB_IJLi1ELi32ELi1ELi8EEEELi4ELNS_13LoopSchedulerE0ELNS_15PipelineVersionE0EDF16_DF16_EELb1ELi3EEEvNT_8ArgumentE
	.globl	_ZN2ck27kernel_gemm_xdl_cshuffle_v2INS_28GridwiseGemm_xdl_cshuffle_v2INS_13tensor_layout4gemm8RowMajorES4_S4_DF16_DF16_fDF16_DF16_NS_16tensor_operation12element_wise11PassThroughES7_S7_LNS5_6device18GemmSpecializationE0ELNS_25InMemoryDataOperationEnumE0ELi2ELi256ELi256ELi256ELi32ELi8ELi4ELi16ELi16ELi8ELi4ENS_8SequenceIJLi4ELi64ELi1EEEENSB_IJLi1ELi0ELi2EEEESD_Li2ELi8ELi8ELb0ELi0ENSB_IJLi8ELi32ELi1EEEENSB_IJLi0ELi2ELi1EEEESF_Li1ELi8ELi4ELb0ELi0ELi1ELi1ENSB_IJLi1ELi32ELi1ELi8EEEELi4ELNS_13LoopSchedulerE0ELNS_15PipelineVersionE0EDF16_DF16_EELb1ELi3EEEvNT_8ArgumentE
	.p2align	8
	.type	_ZN2ck27kernel_gemm_xdl_cshuffle_v2INS_28GridwiseGemm_xdl_cshuffle_v2INS_13tensor_layout4gemm8RowMajorES4_S4_DF16_DF16_fDF16_DF16_NS_16tensor_operation12element_wise11PassThroughES7_S7_LNS5_6device18GemmSpecializationE0ELNS_25InMemoryDataOperationEnumE0ELi2ELi256ELi256ELi256ELi32ELi8ELi4ELi16ELi16ELi8ELi4ENS_8SequenceIJLi4ELi64ELi1EEEENSB_IJLi1ELi0ELi2EEEESD_Li2ELi8ELi8ELb0ELi0ENSB_IJLi8ELi32ELi1EEEENSB_IJLi0ELi2ELi1EEEESF_Li1ELi8ELi4ELb0ELi0ELi1ELi1ENSB_IJLi1ELi32ELi1ELi8EEEELi4ELNS_13LoopSchedulerE0ELNS_15PipelineVersionE0EDF16_DF16_EELb1ELi3EEEvNT_8ArgumentE,@function
_ZN2ck27kernel_gemm_xdl_cshuffle_v2INS_28GridwiseGemm_xdl_cshuffle_v2INS_13tensor_layout4gemm8RowMajorES4_S4_DF16_DF16_fDF16_DF16_NS_16tensor_operation12element_wise11PassThroughES7_S7_LNS5_6device18GemmSpecializationE0ELNS_25InMemoryDataOperationEnumE0ELi2ELi256ELi256ELi256ELi32ELi8ELi4ELi16ELi16ELi8ELi4ENS_8SequenceIJLi4ELi64ELi1EEEENSB_IJLi1ELi0ELi2EEEESD_Li2ELi8ELi8ELb0ELi0ENSB_IJLi8ELi32ELi1EEEENSB_IJLi0ELi2ELi1EEEESF_Li1ELi8ELi4ELb0ELi0ELi1ELi1ENSB_IJLi1ELi32ELi1ELi8EEEELi4ELNS_13LoopSchedulerE0ELNS_15PipelineVersionE0EDF16_DF16_EELb1ELi3EEEvNT_8ArgumentE: ; @_ZN2ck27kernel_gemm_xdl_cshuffle_v2INS_28GridwiseGemm_xdl_cshuffle_v2INS_13tensor_layout4gemm8RowMajorES4_S4_DF16_DF16_fDF16_DF16_NS_16tensor_operation12element_wise11PassThroughES7_S7_LNS5_6device18GemmSpecializationE0ELNS_25InMemoryDataOperationEnumE0ELi2ELi256ELi256ELi256ELi32ELi8ELi4ELi16ELi16ELi8ELi4ENS_8SequenceIJLi4ELi64ELi1EEEENSB_IJLi1ELi0ELi2EEEESD_Li2ELi8ELi8ELb0ELi0ENSB_IJLi8ELi32ELi1EEEENSB_IJLi0ELi2ELi1EEEESF_Li1ELi8ELi4ELb0ELi0ELi1ELi1ENSB_IJLi1ELi32ELi1ELi8EEEELi4ELNS_13LoopSchedulerE0ELNS_15PipelineVersionE0EDF16_DF16_EELb1ELi3EEEvNT_8ArgumentE
; %bb.0:
	s_clause 0x4
	s_load_b128 s[4:7], s[0:1], 0x10
	s_load_b64 s[24:25], s[0:1], 0x20
	s_load_b32 s10, s[0:1], 0x34
	s_load_b128 s[16:19], s[0:1], 0x48
	s_load_b64 s[0:1], s[0:1], 0x58
	s_mov_b32 s26, ttmp9
	s_mov_b32 s2, 0
	s_wait_kmcnt 0x0
	s_add_co_i32 s3, s4, -1
	s_delay_alu instid0(SALU_CYCLE_1)
	s_cmp_lt_u32 s3, 0x100
	s_cbranch_scc1 .LBB3_4
; %bb.1:
	s_add_co_i32 s8, s5, -1
	s_delay_alu instid0(SALU_CYCLE_1)
	s_cmp_lt_u32 s8, 0x100
	s_mov_b32 s8, 0
	s_cbranch_scc1 .LBB3_8
; %bb.2:
	s_addk_co_i32 s4, 0xff
	s_add_co_i32 s8, s5, 0xff
	s_ashr_i32 s9, s4, 31
	s_ashr_i32 s11, s8, 31
	s_lshr_b32 s9, s9, 24
	s_lshr_b32 s11, s11, 24
	s_add_co_i32 s4, s4, s9
	s_add_co_i32 s9, s8, s11
	s_ashr_i32 s8, s4, 8
	s_ashr_i32 s4, s9, 8
	s_ashr_i32 s13, ttmp9, 31
	s_mul_i32 s9, s4, s8
	s_delay_alu instid0(SALU_CYCLE_1) | instskip(NEXT) | instid1(SALU_CYCLE_1)
	s_add_co_i32 s11, s9, 7
	s_ashr_i32 s12, s11, 31
	s_delay_alu instid0(SALU_CYCLE_1) | instskip(NEXT) | instid1(SALU_CYCLE_1)
	s_lshr_b32 s12, s12, 29
	s_add_co_i32 s15, s11, s12
	s_lshr_b32 s11, s13, 29
	s_and_b32 s12, s15, -8
	s_add_co_i32 s14, ttmp9, s11
	s_sub_co_i32 s11, s9, s12
	s_and_b32 s9, s14, -8
	s_add_co_i32 s11, s11, 8
	s_sub_co_i32 s12, ttmp9, s9
	s_ashr_i32 s13, s15, 3
	s_cmp_gt_i32 s12, s11
	s_cbranch_scc1 .LBB3_5
; %bb.3:
	s_mul_i32 s9, s13, s12
	s_ashr_i32 s14, s14, 3
	s_cbranch_execz .LBB3_6
	s_branch .LBB3_7
.LBB3_4:
	s_mov_b32 s4, s2
	s_branch .LBB3_9
.LBB3_5:
                                        ; implicit-def: $sgpr9
	s_ashr_i32 s14, s14, 3
.LBB3_6:
	s_add_co_i32 s9, s13, -1
	s_delay_alu instid0(SALU_CYCLE_1) | instskip(NEXT) | instid1(SALU_CYCLE_1)
	s_mul_i32 s9, s9, s12
	s_add_co_i32 s9, s11, s9
.LBB3_7:
	s_abs_i32 s11, s4
	s_add_co_i32 s9, s9, s14
	s_cvt_f32_u32 s12, s11
	s_sub_co_i32 s13, 0, s11
	s_abs_i32 s14, s9
	s_delay_alu instid0(SALU_CYCLE_1) | instskip(NEXT) | instid1(TRANS32_DEP_1)
	v_rcp_iflag_f32_e32 v1, s12
	v_readfirstlane_b32 s12, v1
	s_mul_f32 s12, s12, 0x4f7ffffe
	s_wait_alu 0xfffe
	s_delay_alu instid0(SALU_CYCLE_2) | instskip(SKIP_1) | instid1(SALU_CYCLE_2)
	s_cvt_u32_f32 s12, s12
	s_wait_alu 0xfffe
	s_mul_i32 s13, s13, s12
	s_wait_alu 0xfffe
	s_mul_hi_u32 s13, s12, s13
	s_wait_alu 0xfffe
	s_add_co_i32 s12, s12, s13
	s_xor_b32 s13, s9, s4
	s_wait_alu 0xfffe
	s_mul_hi_u32 s12, s14, s12
	s_ashr_i32 s13, s13, 31
	s_wait_alu 0xfffe
	s_mul_i32 s15, s12, s11
	s_delay_alu instid0(SALU_CYCLE_1)
	s_sub_co_i32 s14, s14, s15
	s_add_co_i32 s15, s12, 1
	s_sub_co_i32 s20, s14, s11
	s_cmp_ge_u32 s14, s11
	s_cselect_b32 s12, s15, s12
	s_cselect_b32 s14, s20, s14
	s_wait_alu 0xfffe
	s_add_co_i32 s15, s12, 1
	s_cmp_ge_u32 s14, s11
	s_cselect_b32 s11, s15, s12
	s_lshr_b32 s12, s8, 30
	s_xor_b32 s11, s11, s13
	s_wait_alu 0xfffe
	s_add_co_i32 s12, s8, s12
	s_sub_co_i32 s11, s11, s13
	s_wait_alu 0xfffe
	s_and_b32 s12, s12, -4
	s_mul_i32 s13, s11, s4
	s_wait_alu 0xfffe
	s_sub_co_i32 s8, s8, s12
	s_sub_co_i32 s9, s9, s13
	s_cmp_ge_i32 s11, s12
	s_cselect_b32 s12, s8, 4
	s_ashr_i32 s14, s11, 31
	s_wait_alu 0xfffe
	s_abs_i32 s8, s12
	s_lshr_b32 s14, s14, 30
	s_cvt_f32_u32 s13, s8
	s_add_co_i32 s14, s11, s14
	s_sub_co_i32 s15, 0, s8
	s_and_b32 s14, s14, -4
	s_wait_alu 0xfffe
	v_rcp_iflag_f32_e32 v1, s13
	s_sub_co_i32 s14, s11, s14
	s_delay_alu instid0(SALU_CYCLE_1) | instskip(NEXT) | instid1(SALU_CYCLE_1)
	s_mul_i32 s4, s14, s4
	s_add_co_i32 s4, s4, s9
	s_delay_alu instid0(TRANS32_DEP_1) | instskip(SKIP_2) | instid1(SALU_CYCLE_2)
	v_readfirstlane_b32 s13, v1
	s_mul_f32 s13, s13, 0x4f7ffffe
	s_wait_alu 0xfffe
	s_cvt_u32_f32 s13, s13
	s_wait_alu 0xfffe
	s_delay_alu instid0(SALU_CYCLE_2) | instskip(NEXT) | instid1(SALU_CYCLE_1)
	s_mul_i32 s15, s15, s13
	s_mul_hi_u32 s9, s13, s15
	s_abs_i32 s15, s4
	s_add_co_i32 s13, s13, s9
	s_wait_alu 0xfffe
	s_mul_hi_u32 s9, s15, s13
	s_xor_b32 s13, s4, s12
	s_mul_i32 s20, s9, s8
	s_wait_alu 0xfffe
	s_ashr_i32 s13, s13, 31
	s_sub_co_i32 s15, s15, s20
	s_add_co_i32 s20, s9, 1
	s_sub_co_i32 s21, s15, s8
	s_cmp_ge_u32 s15, s8
	s_cselect_b32 s9, s20, s9
	s_cselect_b32 s15, s21, s15
	s_add_co_i32 s20, s9, 1
	s_cmp_ge_u32 s15, s8
	s_cselect_b32 s8, s20, s9
	s_wait_alu 0xfffe
	s_xor_b32 s8, s8, s13
	s_delay_alu instid0(SALU_CYCLE_1) | instskip(NEXT) | instid1(SALU_CYCLE_1)
	s_sub_co_i32 s8, s8, s13
	s_mul_i32 s9, s8, s12
	s_delay_alu instid0(SALU_CYCLE_1) | instskip(NEXT) | instid1(SALU_CYCLE_1)
	s_sub_co_i32 s4, s4, s9
	s_add_co_i32 s4, s4, s11
	s_delay_alu instid0(SALU_CYCLE_1)
	s_sub_co_i32 s26, s4, s14
.LBB3_8:
	s_delay_alu instid0(SALU_CYCLE_1)
	s_mov_b32 s4, s26
	s_mov_b32 s26, s8
.LBB3_9:
	v_lshrrev_b32_e32 v35, 5, v0
	v_and_b32_e32 v34, 0xfc, v0
	v_lshlrev_b32_e32 v2, 3, v0
	s_mov_b32 s8, s7
	s_mov_b32 s9, s2
	v_lshlrev_b32_e32 v38, 2, v35
	v_lshl_or_b32 v64, s4, 8, v34
	v_and_b32_e32 v36, 0xf8, v2
	v_lshrrev_b32_e32 v49, 1, v0
	s_mul_u64 s[8:9], s[2:3], s[8:9]
	v_mul_lo_u32 v1, v38, s24
	v_mul_lo_u32 v37, v64, s7
	s_ashr_i32 s8, s10, 31
	s_lshl_b32 s11, s26, 8
	s_lshr_b32 s8, s8, 30
	s_mov_b32 s12, s24
	s_mov_b32 s13, s2
	s_add_co_i32 s15, s6, 0x7fffffff
	s_mov_b32 s14, s2
	v_and_b32_e32 v39, 3, v0
	v_add3_u32 v1, v1, v36, s11
	v_and_b32_e32 v50, 8, v49
	s_add_co_i32 s10, s10, s8
	s_wait_alu 0xfffe
	s_mul_u64 s[12:13], s[14:15], s[12:13]
	s_ashr_i32 s12, s10, 2
	scratch_store_b32 off, v2, off offset:1500 ; 4-byte Folded Spill
	v_lshl_add_u32 v9, v39, 3, v37
	v_and_b32_e32 v65, 15, v0
	; sched_barrier mask(0x00000000)
	v_add_nc_u32_e32 v2, s24, v1
	s_delay_alu instid0(VALU_DEP_3)
	v_add_nc_u32_e32 v11, s7, v9
	s_wait_alu 0xfffe
	s_add_co_i32 s8, s5, s13
	v_lshlrev_b32_e32 v1, 1, v1
	v_lshlrev_b32_e32 v9, 1, v9
	v_add_nc_u32_e32 v10, s24, v2
	v_add_nc_u32_e32 v25, s7, v11
	s_mov_b32 s11, 0x31004000
	s_lshl_b32 s14, s8, 1
	v_lshlrev_b32_e32 v5, 1, v2
	v_add_nc_u32_e32 v40, s24, v10
	s_add_co_i32 s6, s6, s9
	v_lshlrev_b32_e32 v12, 1, v11
	s_and_b32 s21, s19, 0xffff
	s_mov_b32 s20, s18
	s_mov_b32 s22, s14
	s_wait_alu 0xfffe
	s_mov_b32 s23, s11
	s_and_b32 s9, s17, 0xffff
	s_mov_b32 s8, s16
	s_lshl_b32 s10, s6, 1
	v_lshlrev_b32_e32 v10, 1, v10
	s_clause 0x1
	buffer_load_b128 v[1:4], v1, s[20:23], null offen
	buffer_load_b128 v[5:8], v5, s[20:23], null offen
	v_lshlrev_b32_e32 v13, 1, v40
	s_clause 0x1
	buffer_load_b128 v[17:20], v9, s[8:11], null offen
	buffer_load_b128 v[21:24], v12, s[8:11], null offen
	v_add_nc_u32_e32 v33, s7, v25
	s_clause 0x1
	buffer_load_b128 v[9:12], v10, s[20:23], null offen
	buffer_load_b128 v[13:16], v13, s[20:23], null offen
	v_lshlrev_b32_e32 v25, 1, v25
	s_mul_i32 s19, s24, 29
	v_lshlrev_b32_e32 v29, 1, v33
	s_clause 0x1
	buffer_load_b128 v[25:28], v25, s[8:11], null offen
	buffer_load_b128 v[29:32], v29, s[8:11], null offen
	v_add_nc_u32_e32 v40, s19, v40
	v_lshlrev_b32_e32 v42, 4, v34
	v_lshlrev_b32_e32 v35, 11, v35
	;; [unrolled: 1-line block ×3, first 2 shown]
	s_mul_i32 s27, s7, -3
	v_add_nc_u32_e32 v41, s24, v40
	v_lshl_or_b32 v67, v39, 12, v42
	v_lshl_or_b32 v66, v36, 3, v35
	v_lshlrev_b32_e32 v35, 1, v40
	s_add_co_i32 s27, s27, 32
	v_add_nc_u32_e32 v34, s24, v41
	v_lshlrev_b32_e32 v36, 1, v41
	v_lshlrev_b32_e32 v39, 4, v39
	s_lshl_b32 s28, s26, 9
	s_add_co_i32 s6, s12, -3
	v_add_nc_u32_e32 v40, s24, v34
	s_lshl_b32 s17, s24, 7
	s_mov_b32 s12, s18
	s_mov_b32 s18, s2
	;; [unrolled: 1-line block ×4, first 2 shown]
	s_wait_loadcnt 0x5
	ds_store_b128 v67, v[17:20]
	s_wait_loadcnt 0x4
	ds_store_b128 v67, v[21:24] offset:16
	v_and_or_b32 v17, v49, 48, v65
	v_add_nc_u32_e32 v18, s27, v33
	s_wait_loadcnt 0x2
	v_perm_b32 v42, v13, v9, 0x5040100
	v_perm_b32 v44, v13, v9, 0x7060302
	v_lshlrev_b32_e32 v9, 1, v34
	v_lshlrev_b32_e32 v13, 1, v40
	v_lshl_or_b32 v68, v17, 3, v61
	v_perm_b32 v41, v5, v1, 0x5040100
	v_perm_b32 v43, v5, v1, 0x7060302
	;; [unrolled: 1-line block ×14, first 2 shown]
	s_wait_loadcnt 0x1
	ds_store_b128 v67, v[25:28] offset:32
	s_wait_loadcnt 0x0
	ds_store_b128 v67, v[29:32] offset:48
	ds_store_b128 v66, v[41:44] offset:16384
	ds_store_b128 v66, v[45:48] offset:16400
	ds_store_b128 v66, v[1:4] offset:16416
	ds_store_b128 v66, v[5:8] offset:16432
	s_wait_dscnt 0x0
	s_barrier_signal -1
	s_barrier_wait -1
	s_clause 0x3
	buffer_load_b128 v[1:4], v35, s[20:23], null offen
	buffer_load_b128 v[5:8], v36, s[20:23], null offen
	;; [unrolled: 1-line block ×4, first 2 shown]
	s_clause 0x1
	scratch_store_b32 off, v50, off offset:1512
	scratch_store_b32 off, v49, off offset:1504
	v_lshlrev_b32_e32 v62, 1, v18
	v_add_nc_u32_e32 v63, s7, v18
	ds_load_2addr_stride64_b64 v[17:20], v68 offset0:32 offset1:33
	ds_load_2addr_stride64_b64 v[41:44], v68 offset0:34 offset1:35
	;; [unrolled: 1-line block ×8, first 2 shown]
	s_clause 0x2
	scratch_store_b32 off, v39, off offset:1476
	scratch_store_b32 off, v65, off offset:1508
	;; [unrolled: 1-line block ×3, first 2 shown]
	v_or_b32_e32 v39, 3, v64
	s_delay_alu instid0(VALU_DEP_1)
	v_mul_lo_u32 v39, s7, v39
	s_wait_dscnt 0x7
	v_mov_b32_e32 v29, v17
	s_wait_dscnt 0x6
	v_mov_b32_e32 v33, v41
	;; [unrolled: 2-line block ×3, first 2 shown]
	v_dual_mov_b32 v21, v19 :: v_dual_mov_b32 v34, v42
	s_wait_dscnt 0x4
	v_dual_mov_b32 v35, v25 :: v_dual_mov_b32 v36, v26
	v_dual_mov_b32 v25, v43 :: v_dual_mov_b32 v26, v44
	s_wait_dscnt 0x0
	v_mov_b32_e32 v19, v105
	v_mov_b32_e32 v105, v59
	buffer_load_b128 v[41:44], v62, s[8:11], null offen
	v_mov_b32_e32 v109, v53
	v_dual_mov_b32 v110, v54 :: v_dual_lshlrev_b32 v53, 1, v63
	v_dual_mov_b32 v111, v77 :: v_dual_mov_b32 v112, v78
	v_dual_mov_b32 v77, v55 :: v_dual_mov_b32 v78, v56
	buffer_load_b128 v[53:56], v53, s[8:11], null offen
	v_dual_mov_b32 v17, v57 :: v_dual_mov_b32 v30, v18
	v_mov_b32_e32 v18, v58
	v_lshl_add_u32 v73, v39, 1, 0x100
	v_mov_b32_e32 v32, v22
	v_mov_b32_e32 v22, v20
	v_mov_b32_e32 v20, v106
	v_mov_b32_e32 v106, v60
	v_add_nc_u32_e32 v40, s19, v40
	s_wait_loadcnt 0x4
	v_perm_b32 v45, v5, v1, 0x5040100
	v_perm_b32 v47, v5, v1, 0x7060302
	;; [unrolled: 1-line block ×4, first 2 shown]
	s_wait_loadcnt 0x2
	v_perm_b32 v46, v13, v9, 0x5040100
	v_perm_b32 v48, v13, v9, 0x7060302
	;; [unrolled: 1-line block ×12, first 2 shown]
	s_wait_loadcnt 0x1
	ds_store_b128 v67, v[41:44] offset:32768
	v_add_nc_u32_e32 v41, s7, v63
	s_delay_alu instid0(VALU_DEP_1)
	v_lshlrev_b32_e32 v42, 1, v41
	v_add_nc_u32_e32 v57, s7, v41
	buffer_load_b128 v[41:44], v42, s[8:11], null offen
	s_wait_loadcnt 0x1
	ds_store_b128 v67, v[53:56] offset:32784
	v_lshlrev_b32_e32 v53, 1, v57
	buffer_load_b128 v[53:56], v53, s[8:11], null offen
	s_wait_loadcnt 0x1
	ds_store_b128 v67, v[41:44] offset:32800
	v_or_b32_e32 v43, 0x83, v38
	v_or_b32_e32 v44, 0x82, v38
	s_wait_loadcnt 0x0
	ds_store_b128 v67, v[53:56] offset:32816
	ds_store_b128 v66, v[45:48] offset:49152
	;; [unrolled: 1-line block ×4, first 2 shown]
	v_mov_b32_e32 v49, 0
	v_and_b32_e32 v41, 0x80, v0
	v_lshlrev_b32_e32 v42, 4, v65
	v_lshlrev_b32_e32 v62, 1, v37
	ds_store_b128 v66, v[5:8] offset:49200
	v_dual_mov_b32 v162, v49 :: v_dual_lshlrev_b32 v41, 1, v41
	v_dual_mov_b32 v164, v49 :: v_dual_mov_b32 v51, v49
	v_dual_mov_b32 v168, v49 :: v_dual_mov_b32 v55, v49
	s_delay_alu instid0(VALU_DEP_3)
	v_or3_b32 v58, v42, v41, v61
	v_add_lshl_u32 v61, v37, s7, 1
	v_and_b32_e32 v37, 31, v0
	v_dual_mov_b32 v1, v49 :: v_dual_mov_b32 v178, v49
	v_dual_mov_b32 v2, v49 :: v_dual_mov_b32 v3, v49
	v_mov_b32_e32 v180, v49
	s_delay_alu instid0(VALU_DEP_4)
	v_lshlrev_b32_e32 v0, 4, v37
	v_dual_mov_b32 v4, v49 :: v_dual_mov_b32 v5, v49
	v_mov_b32_e32 v182, v49
	v_mov_b32_e32 v6, v49
	scratch_store_b32 off, v0, off offset:1480 ; 4-byte Folded Spill
	v_dual_mov_b32 v0, v49 :: v_dual_mov_b32 v7, v49
	v_mov_b32_e32 v184, v49
	s_clause 0x1d
	scratch_store_b128 off, v[0:3], off offset:976
	scratch_store_b128 off, v[4:7], off offset:992
	;; [unrolled: 1-line block ×30, first 2 shown]
	v_or_b32_e32 v53, 0x81, v38
	v_or_b32_e32 v54, 0x80, v38
	;; [unrolled: 1-line block ×6, first 2 shown]
	v_mov_b32_e32 v217, v49
	v_mul_lo_u32 v41, s24, v44
	v_mul_lo_u32 v44, s24, v45
	;; [unrolled: 1-line block ×4, first 2 shown]
	v_dual_mov_b32 v56, v49 :: v_dual_mov_b32 v221, v49
	v_mul_lo_u32 v42, s24, v53
	v_mul_lo_u32 v43, s24, v54
	v_lshl_add_u32 v8, v41, 1, s28
	v_mov_b32_e32 v50, v49
	v_mov_b32_e32 v52, v49
	v_lshl_add_u32 v119, v38, 1, s28
	v_dual_mov_b32 v219, v49 :: v_dual_add_nc_u32 v38, s27, v57
	v_dual_mov_b32 v53, v49 :: v_dual_mov_b32 v54, v49
	v_dual_mov_b32 v135, v49 :: v_dual_mov_b32 v144, v56
	s_delay_alu instid0(VALU_DEP_3)
	v_add_nc_u32_e32 v39, s7, v38
	v_lshlrev_b32_e32 v38, 1, v38
	v_lshl_add_u32 v185, v37, 1, s28
	v_add_nc_u32_e32 v37, s24, v40
	v_or_b32_e32 v48, 2, v64
	v_lshlrev_b32_e32 v41, 1, v39
	v_mul_lo_u32 v45, s24, v46
	v_mul_lo_u32 v46, s24, v47
	v_mov_b32_e32 v166, v49
	v_mul_lo_u32 v47, s7, v48
	v_dual_mov_b32 v177, v49 :: v_dual_mov_b32 v226, v49
	v_dual_mov_b32 v179, v49 :: v_dual_mov_b32 v228, v49
	;; [unrolled: 1-line block ×11, first 2 shown]
	v_mov_b32_e32 v137, v49
	v_lshl_add_u32 v120, v46, 1, s28
	v_lshl_add_u32 v255, v45, 1, s28
	;; [unrolled: 1-line block ×4, first 2 shown]
	s_clause 0x5
	scratch_store_b128 off, v[0:3], off offset:784
	scratch_store_b128 off, v[4:7], off offset:800
	;; [unrolled: 1-line block ×6, first 2 shown]
	v_mov_b32_e32 v161, v49
	v_mov_b32_e32 v163, v49
	;; [unrolled: 1-line block ×3, first 2 shown]
	v_dual_mov_b32 v167, v49 :: v_dual_mov_b32 v130, v49
	v_mov_b32_e32 v132, v49
	v_mov_b32_e32 v134, v49
	;; [unrolled: 1-line block ×3, first 2 shown]
	v_dual_mov_b32 v208, v7 :: v_dual_mov_b32 v207, v6
	v_dual_mov_b32 v206, v5 :: v_dual_mov_b32 v205, v4
	;; [unrolled: 1-line block ×4, first 2 shown]
	s_clause 0xd
	scratch_store_b128 off, v[0:3], off offset:720
	scratch_store_b128 off, v[4:7], off offset:736
	;; [unrolled: 1-line block ×10, first 2 shown]
	scratch_store_b128 off, v[0:3], off
	scratch_store_b128 off, v[4:7], off offset:16
	scratch_store_b128 off, v[0:3], off offset:96
	;; [unrolled: 1-line block ×3, first 2 shown]
	v_lshl_add_u32 v0, v44, 1, s28
	s_clause 0x1
	buffer_load_b128 v[69:72], v38, s[8:11], null offen
	buffer_load_b128 v[101:104], v41, s[8:11], null offen
	v_dual_mov_b32 v223, v49 :: v_dual_add_nc_u32 v38, s7, v39
	v_mov_b32_e32 v143, v55
	s_clause 0x1
	scratch_store_b32 off, v0, off offset:512
	scratch_store_b32 off, v68, off offset:1472
	v_lshlrev_b32_e32 v39, 1, v40
	v_lshlrev_b32_e32 v40, 1, v38
	v_add_lshl_u32 v38, v38, s7, 1
	v_or_b32_e32 v0, 0x8000, v68
	v_lshlrev_b32_e32 v1, 1, v47
	s_clause 0x1
	buffer_load_b128 v[97:100], v40, s[8:11], null offen
	buffer_load_b128 v[169:172], v38, s[8:11], null offen
	s_clause 0x1
	scratch_store_b32 off, v0, off offset:1464
	scratch_store_b32 off, v66, off offset:1456
	v_or_b32_e32 v0, 0x8000, v66
	s_clause 0x1
	scratch_store_b32 off, v0, off offset:1488
	scratch_store_b32 off, v67, off offset:1460
	v_or_b32_e32 v0, 0x8000, v67
	v_dual_mov_b32 v141, v53 :: v_dual_add_nc_u32 v40, s24, v37
	v_mov_b32_e32 v139, v51
	v_lshlrev_b32_e32 v37, 1, v37
	scratch_store_b32 off, v0, off offset:1492 ; 4-byte Folded Spill
	v_or_b32_e32 v0, 0x8000, v58
	v_add_lshl_u32 v41, v40, s24, 1
	v_lshlrev_b32_e32 v40, 1, v40
	scratch_store_b32 off, v0, off offset:1468 ; 4-byte Folded Spill
	s_clause 0x3
	buffer_load_b128 v[49:52], v41, s[20:23], null offen
	buffer_load_b128 v[45:48], v40, s[20:23], null offen
	;; [unrolled: 1-line block ×4, first 2 shown]
	ds_load_b128 v[2:5], v58 offset:11776
	s_wait_dscnt 0x0
	scratch_store_b128 off, v[2:5], off offset:1008 ; 16-byte Folded Spill
	ds_load_b128 v[2:5], v58 offset:11264
	s_wait_dscnt 0x0
	scratch_store_b128 off, v[2:5], off offset:1040 ; 16-byte Folded Spill
	;; [unrolled: 3-line block ×3, first 2 shown]
	ds_load_b128 v[249:252], v58 offset:10240
	ds_load_b128 v[2:5], v58 offset:9728
	s_wait_dscnt 0x0
	scratch_store_b128 off, v[2:5], off offset:1056 ; 16-byte Folded Spill
	ds_load_b128 v[2:5], v58 offset:9216
	s_wait_dscnt 0x0
	scratch_store_b128 off, v[2:5], off offset:1088 ; 16-byte Folded Spill
	;; [unrolled: 3-line block ×8, first 2 shown]
	ds_load_b128 v[173:176], v58 offset:1536
	ds_load_b128 v[2:5], v58 offset:1024
	scratch_load_b32 v254, off, off offset:1480 ; 4-byte Folded Reload
	ds_load_b128 v[113:116], v58 offset:512
	scratch_store_b32 off, v58, off offset:1484 ; 4-byte Folded Spill
	s_wait_dscnt 0x1
	scratch_store_b128 off, v[2:5], off offset:1184 ; 16-byte Folded Spill
	ds_load_b128 v[2:5], v58
.LBB3_10:                               ; =>This Inner Loop Header: Depth=1
	s_clause 0x9
	scratch_store_b32 off, v185, off offset:1260
	scratch_store_b32 off, v60, off offset:1256
	;; [unrolled: 1-line block ×10, first 2 shown]
	s_wait_dscnt 0x0
	s_barrier_signal -1
	s_barrier_wait -1
	s_clause 0x9
	scratch_load_b128 v[185:188], off, off offset:880 th:TH_LOAD_LU
	scratch_load_b128 v[209:212], off, off offset:912 th:TH_LOAD_LU
	;; [unrolled: 1-line block ×10, first 2 shown]
	s_wait_loadcnt 0xb
	v_perm_b32 v53, v41, v37, 0x5040100
	v_perm_b32 v55, v41, v37, 0x7060302
	v_perm_b32 v57, v42, v38, 0x5040100
	v_perm_b32 v59, v42, v38, 0x7060302
	v_perm_b32 v37, v43, v39, 0x5040100
	v_perm_b32 v39, v43, v39, 0x7060302
	v_perm_b32 v41, v44, v40, 0x5040100
	v_perm_b32 v43, v44, v40, 0x7060302
	v_perm_b32 v54, v49, v45, 0x5040100
	v_perm_b32 v56, v49, v45, 0x7060302
	v_perm_b32 v58, v50, v46, 0x5040100
	v_perm_b32 v60, v50, v46, 0x7060302
	v_perm_b32 v38, v51, v47, 0x5040100
	v_perm_b32 v40, v51, v47, 0x7060302
	v_perm_b32 v42, v52, v48, 0x5040100
	v_perm_b32 v44, v52, v48, 0x7060302
	s_clause 0x6
	scratch_load_b128 v[145:148], off, off offset:816 th:TH_LOAD_LU
	scratch_load_b128 v[153:156], off, off offset:688 th:TH_LOAD_LU
	;; [unrolled: 1-line block ×6, first 2 shown]
	scratch_load_b32 v117, off, off offset:1456
	s_wait_loadcnt 0xd
	v_wmma_f32_16x16x16_f16 v[185:192], v[113:116], v[29:32], v[185:192]
	s_wait_loadcnt 0xc
	v_wmma_f32_16x16x16_f16 v[209:216], v[113:116], v[33:36], v[209:216]
	;; [unrolled: 2-line block ×3, first 2 shown]
	scratch_load_b128 v[45:48], off, off offset:384 th:TH_LOAD_LU ; 16-byte Folded Reload
	; sched_group_barrier mask(0x00000008) size(1) SyncID(0)
	s_wait_loadcnt 0x9
	v_wmma_f32_16x16x16_f16 v[81:88], v[173:176], v[33:36], v[81:88]
	s_wait_loadcnt 0x8
	v_wmma_f32_16x16x16_f16 v[89:96], v[173:176], v[25:28], v[89:96]
	scratch_load_b128 v[49:52], off, off offset:400 th:TH_LOAD_LU ; 16-byte Folded Reload
	s_wait_loadcnt 0x0
	v_wmma_f32_16x16x16_f16 v[45:52], v[2:5], v[29:32], v[45:52]
	scratch_load_b32 v253, off, off offset:1468 ; 4-byte Folded Reload
	v_dual_mov_b32 v240, v52 :: v_dual_mov_b32 v239, v51
	v_dual_mov_b32 v238, v50 :: v_dual_mov_b32 v237, v49
	;; [unrolled: 1-line block ×4, first 2 shown]
	s_wait_loadcnt 0x0
	ds_load_b128 v[45:48], v253
	scratch_load_b32 v118, off, off offset:1464 ; 4-byte Folded Reload
	s_wait_dscnt 0x0
	scratch_store_b128 off, v[45:48], off offset:1264 ; 16-byte Folded Spill
	s_wait_loadcnt 0x0
	ds_load_2addr_stride64_b64 v[6:9], v118 offset0:32 offset1:33
	s_clause 0x1
	scratch_load_b128 v[45:48], off, off offset:944 th:TH_LOAD_LU
	scratch_load_b128 v[49:52], off, off offset:960 th:TH_LOAD_LU
	s_wait_dscnt 0x0
	scratch_store_b128 off, v[6:9], off offset:1296 ; 16-byte Folded Spill
	s_wait_loadcnt 0x0
	v_wmma_f32_16x16x16_f16 v[45:52], v[2:5], v[21:24], v[45:52]
	scratch_load_b32 v8, off, off offset:1460 ; 4-byte Folded Reload
	v_dual_mov_b32 v248, v52 :: v_dual_mov_b32 v247, v51
	v_dual_mov_b32 v246, v50 :: v_dual_mov_b32 v245, v49
	;; [unrolled: 1-line block ×4, first 2 shown]
	s_wait_loadcnt 0x0
	ds_store_b128 v8, v[169:172] offset:48
	ds_store_b128 v8, v[69:72]
	s_clause 0x1
	scratch_load_b128 v[9:12], off, off offset:480
	scratch_load_b128 v[13:16], off, off offset:496
	s_wait_loadcnt 0x0
	v_wmma_f32_16x16x16_f16 v[9:16], v[2:5], v[33:36], v[9:16]
	scratch_load_b32 v69, off, off offset:1476 ; 4-byte Folded Reload
	s_clause 0x1
	scratch_store_b128 off, v[9:12], off offset:480
	scratch_store_b128 off, v[13:16], off offset:496
	s_wait_loadcnt 0x0
	v_add_nc_u32_e32 v0, v69, v62
	scratch_store_b32 off, v0, off offset:944 ; 4-byte Folded Spill
	buffer_load_b128 v[45:48], v0, s[8:11], null offen offset:192
	v_add_nc_u32_e32 v0, v69, v61
	ds_load_b128 v[61:64], v253 offset:512
	scratch_store_b32 off, v0, off offset:880 ; 4-byte Folded Spill
	s_wait_dscnt 0x0
	scratch_store_b128 off, v[61:64], off offset:816 ; 16-byte Folded Spill
	ds_load_b128 v[61:64], v253 offset:1024
	s_wait_dscnt 0x0
	scratch_store_b128 off, v[61:64], off offset:976 ; 16-byte Folded Spill
	ds_load_b128 v[61:64], v253 offset:1536
	;; [unrolled: 3-line block ×3, first 2 shown]
	s_clause 0x1
	scratch_load_b128 v[9:12], off, off offset:448
	scratch_load_b128 v[13:16], off, off offset:464
	s_wait_loadcnt 0x2
	scratch_store_b128 off, v[45:48], off offset:1280 ; 16-byte Folded Spill
	s_wait_loadcnt 0x0
	v_wmma_f32_16x16x16_f16 v[9:16], v[2:5], v[25:28], v[9:16]
	s_clause 0x1
	scratch_store_b128 off, v[9:12], off offset:448
	scratch_store_b128 off, v[13:16], off offset:464
	s_clause 0x1
	scratch_load_b128 v[9:12], off, off offset:416 th:TH_LOAD_LU
	scratch_load_b128 v[13:16], off, off offset:432 th:TH_LOAD_LU
	s_wait_loadcnt 0x0
	v_wmma_f32_16x16x16_f16 v[9:16], v[113:116], v[21:24], v[9:16]
	scratch_load_b128 v[113:116], off, off offset:1168 th:TH_LOAD_LU ; 16-byte Folded Reload
	s_wait_dscnt 0x0
	scratch_store_b128 off, v[61:64], off offset:1168 ; 16-byte Folded Spill
	ds_load_b128 v[61:64], v253 offset:2560
	ds_store_b128 v8, v[101:104] offset:16
	ds_store_b128 v8, v[97:100] offset:32
	ds_load_2addr_stride64_b64 v[2:5], v118 offset0:34 offset1:35
	v_add_nc_u32_e32 v8, v69, v73
	s_clause 0x1
	scratch_load_b128 v[97:100], off, off offset:528 th:TH_LOAD_LU
	scratch_load_b128 v[101:104], off, off offset:544 th:TH_LOAD_LU
	s_wait_dscnt 0x0
	scratch_store_b128 off, v[2:5], off offset:1312 ; 16-byte Folded Spill
	buffer_load_b128 v[2:5], v0, s[8:11], null offen offset:192
	v_add_nc_u32_e32 v0, v69, v1
	v_subrev_nc_u32_e32 v69, 64, v8
	scratch_store_b32 off, v0, off offset:656 ; 4-byte Folded Spill
	buffer_load_b128 v[69:72], v69, s[8:11], null offen
	s_wait_loadcnt 0x1
	scratch_store_b128 off, v[2:5], off offset:912 ; 16-byte Folded Spill
	scratch_load_b128 v[2:5], off, off offset:1184 th:TH_LOAD_LU ; 16-byte Folded Reload
	s_wait_loadcnt 0x1
	scratch_store_b128 off, v[69:72], off offset:592 ; 16-byte Folded Spill
	s_clause 0x1
	scratch_load_b128 v[69:72], off, off offset:32
	scratch_load_b128 v[73:76], off, off offset:48
	s_wait_loadcnt 0x0
	v_wmma_f32_16x16x16_f16 v[69:76], v[113:116], v[33:36], v[69:76]
	s_clause 0x1
	scratch_store_b128 off, v[69:72], off offset:32
	scratch_store_b128 off, v[73:76], off offset:48
	s_clause 0x1
	scratch_load_b128 v[69:72], off, off offset:160
	scratch_load_b128 v[73:76], off, off offset:176
	s_wait_loadcnt 0x0
	v_wmma_f32_16x16x16_f16 v[69:76], v[113:116], v[25:28], v[69:76]
	s_clause 0x1
	scratch_store_b128 off, v[69:72], off offset:160
	scratch_store_b128 off, v[73:76], off offset:176
	ds_load_b128 v[69:72], v253 offset:3072
	v_wmma_f32_16x16x16_f16 v[97:104], v[173:176], v[29:32], v[97:104]
	v_wmma_f32_16x16x16_f16 v[161:168], v[113:116], v[29:32], v[161:168]
	;; [unrolled: 1-line block ×6, first 2 shown]
	buffer_load_b128 v[0:3], v0, s[8:11], null offen offset:192
	s_clause 0x1
	scratch_store_b128 off, v[161:164], off offset:320
	scratch_store_b128 off, v[165:168], off offset:336
	s_clause 0x1
	scratch_load_b128 v[161:164], off, off offset:720 th:TH_LOAD_LU
	scratch_load_b128 v[165:168], off, off offset:736 th:TH_LOAD_LU
	s_wait_loadcnt 0x2
	scratch_store_b128 off, v[0:3], off offset:688 ; 16-byte Folded Spill
	s_clause 0x1
	scratch_load_b128 v[0:3], off, off offset:560 th:TH_LOAD_LU
	scratch_load_b128 v[4:7], off, off offset:576 th:TH_LOAD_LU
	s_wait_loadcnt 0x0
	v_wmma_f32_16x16x16_f16 v[0:7], v[173:176], v[21:24], v[0:7]
	s_clause 0x1
	scratch_load_b128 v[169:172], off, off offset:784 th:TH_LOAD_LU
	scratch_load_b128 v[173:176], off, off offset:800 th:TH_LOAD_LU
	scratch_store_b128 off, v[61:64], off offset:784 ; 16-byte Folded Spill
	s_clause 0x1
	scratch_load_b128 v[61:64], off, off offset:64
	scratch_load_b128 v[65:68], off, off offset:80
	s_wait_loadcnt 0x2
	v_wmma_f32_16x16x16_f16 v[169:176], v[113:116], v[21:24], v[169:176]
	scratch_load_b128 v[113:116], off, off offset:1152 th:TH_LOAD_LU ; 16-byte Folded Reload
	s_wait_loadcnt 0x0
	v_wmma_f32_16x16x16_f16 v[177:184], v[113:116], v[33:36], v[177:184]
	v_wmma_f32_16x16x16_f16 v[129:136], v[113:116], v[25:28], v[129:136]
	;; [unrolled: 1-line block ×4, first 2 shown]
	scratch_load_b128 v[113:116], off, off offset:1136 th:TH_LOAD_LU ; 16-byte Folded Reload
	s_clause 0x1
	scratch_store_b128 off, v[177:180], off offset:288
	scratch_store_b128 off, v[181:184], off offset:304
	s_clause 0x1
	scratch_load_b128 v[177:180], off, off offset:752 th:TH_LOAD_LU
	scratch_load_b128 v[181:184], off, off offset:768 th:TH_LOAD_LU
	s_clause 0x1
	scratch_store_b128 off, v[129:132], off offset:352
	scratch_store_b128 off, v[133:136], off offset:368
	s_clause 0x1
	scratch_load_b128 v[129:132], off, off
	scratch_load_b128 v[133:136], off, off offset:16
	s_clause 0x1
	scratch_store_b128 off, v[201:204], off offset:192
	scratch_store_b128 off, v[205:208], off offset:208
	s_wait_loadcnt 0x4
	v_wmma_f32_16x16x16_f16 v[61:68], v[113:116], v[29:32], v[61:68]
	s_clause 0x1
	scratch_store_b128 off, v[61:64], off offset:64
	scratch_store_b128 off, v[65:68], off offset:80
	scratch_load_b128 v[61:64], off, off offset:848 th:TH_LOAD_LU ; 16-byte Folded Reload
	s_wait_dscnt 0x0
	scratch_store_b128 off, v[69:72], off offset:848 ; 16-byte Folded Spill
	ds_load_b128 v[69:72], v253 offset:3584
	scratch_load_b128 v[65:68], off, off offset:864 th:TH_LOAD_LU ; 16-byte Folded Reload
	s_wait_loadcnt 0x4
	v_wmma_f32_16x16x16_f16 v[177:184], v[113:116], v[33:36], v[177:184]
	s_wait_dscnt 0x0
	scratch_store_b128 off, v[69:72], off offset:560 ; 16-byte Folded Spill
	s_clause 0x1
	scratch_load_b128 v[69:72], off, off offset:128
	scratch_load_b128 v[73:76], off, off offset:144
	s_wait_loadcnt 0x0
	v_wmma_f32_16x16x16_f16 v[69:76], v[113:116], v[25:28], v[69:76]
	v_wmma_f32_16x16x16_f16 v[61:68], v[113:116], v[21:24], v[61:68]
	scratch_load_b128 v[113:116], off, off offset:1120 th:TH_LOAD_LU ; 16-byte Folded Reload
	s_clause 0x1
	scratch_store_b128 off, v[69:72], off offset:128
	scratch_store_b128 off, v[73:76], off offset:144
	s_clause 0x1
	scratch_load_b128 v[69:72], off, off offset:96
	scratch_load_b128 v[73:76], off, off offset:112
	s_wait_loadcnt 0x2
	v_wmma_f32_16x16x16_f16 v[217:224], v[113:116], v[25:28], v[217:224]
	v_wmma_f32_16x16x16_f16 v[225:232], v[113:116], v[21:24], v[225:232]
	ds_load_b128 v[21:24], v253 offset:8192
	v_add_nc_u32_e32 v25, v254, v255
	s_clause 0x1
	scratch_store_b128 off, v[217:220], off offset:256
	scratch_store_b128 off, v[221:224], off offset:272
	s_clause 0x1
	scratch_load_b128 v[217:220], off, off offset:448 th:TH_LOAD_LU
	scratch_load_b128 v[221:224], off, off offset:464 th:TH_LOAD_LU
	s_clause 0x1
	scratch_store_b128 off, v[225:228], off offset:224
	scratch_store_b128 off, v[229:232], off offset:240
	v_dual_mov_b32 v232, v168 :: v_dual_mov_b32 v231, v167
	v_dual_mov_b32 v230, v166 :: v_dual_mov_b32 v229, v165
	;; [unrolled: 1-line block ×4, first 2 shown]
	s_clause 0x1
	scratch_load_b128 v[161:164], off, off offset:320
	scratch_load_b128 v[165:168], off, off offset:336
	buffer_load_b128 v[25:28], v25, s[12:15], null offen
	s_wait_dscnt 0x0
	scratch_store_b128 off, v[21:24], off offset:528 ; 16-byte Folded Spill
	ds_load_2addr_stride64_b64 v[21:24], v118 offset0:48 offset1:49
	s_wait_dscnt 0x0
	scratch_store_b128 off, v[21:24], off offset:720 ; 16-byte Folded Spill
	scratch_load_b128 v[21:24], off, off offset:1072 th:TH_LOAD_LU ; 16-byte Folded Reload
	s_wait_loadcnt 0x0
	v_wmma_f32_16x16x16_f16 v[217:224], v[21:24], v[105:108], v[217:224]
	v_wmma_f32_16x16x16_f16 v[233:240], v[21:24], v[109:112], v[233:240]
	;; [unrolled: 1-line block ×4, first 2 shown]
	scratch_load_b32 v29, off, off offset:512 ; 4-byte Folded Reload
	s_clause 0x3
	scratch_store_b128 off, v[233:236], off offset:384
	scratch_store_b128 off, v[237:240], off offset:400
	scratch_store_b128 off, v[129:132], off
	scratch_store_b128 off, v[133:136], off offset:16
	s_clause 0x3
	scratch_load_b128 v[129:132], off, off offset:480 th:TH_LOAD_LU
	scratch_load_b128 v[133:136], off, off offset:496 th:TH_LOAD_LU
	scratch_load_b128 v[233:236], off, off offset:192
	scratch_load_b128 v[237:240], off, off offset:208
	v_dual_mov_b32 v201, v241 :: v_dual_mov_b32 v202, v242
	v_dual_mov_b32 v203, v243 :: v_dual_mov_b32 v204, v244
	;; [unrolled: 1-line block ×8, first 2 shown]
	s_wait_loadcnt 0x2
	v_wmma_f32_16x16x16_f16 v[129:136], v[21:24], v[17:20], v[129:136]
	ds_load_2addr_stride64_b64 v[21:24], v118 offset0:50 offset1:51
	s_wait_dscnt 0x0
	scratch_store_b128 off, v[21:24], off offset:448 ; 16-byte Folded Spill
	scratch_load_b128 v[21:24], off, off offset:1104 th:TH_LOAD_LU ; 16-byte Folded Reload
	s_wait_loadcnt 0x0
	v_wmma_f32_16x16x16_f16 v[9:16], v[21:24], v[77:80], v[9:16]
	s_clause 0x1
	scratch_store_b128 off, v[9:12], off offset:416
	scratch_store_b128 off, v[13:16], off offset:432
	ds_load_b128 v[9:12], v253 offset:9728
	s_wait_dscnt 0x0
	scratch_store_b128 off, v[9:12], off offset:1360 ; 16-byte Folded Spill
	s_clause 0x1
	scratch_load_b128 v[9:12], off, off offset:32
	scratch_load_b128 v[13:16], off, off offset:48
	s_wait_loadcnt 0x0
	v_wmma_f32_16x16x16_f16 v[9:16], v[249:252], v[17:20], v[9:16]
	s_clause 0x1
	scratch_store_b128 off, v[9:12], off offset:32
	scratch_store_b128 off, v[13:16], off offset:48
	ds_load_b128 v[9:12], v253 offset:10240
	s_wait_dscnt 0x0
	scratch_store_b128 off, v[9:12], off offset:1376 ; 16-byte Folded Spill
	ds_load_b128 v[9:12], v253 offset:10752
	s_wait_dscnt 0x0
	scratch_store_b128 off, v[9:12], off offset:752 ; 16-byte Folded Spill
	;; [unrolled: 3-line block ×3, first 2 shown]
	ds_load_b128 v[9:12], v253 offset:11776
	v_wmma_f32_16x16x16_f16 v[169:176], v[249:252], v[77:80], v[169:176]
	v_wmma_f32_16x16x16_f16 v[161:168], v[249:252], v[109:112], v[161:168]
	;; [unrolled: 1-line block ×3, first 2 shown]
	; sched_group_barrier mask(0x00000100) size(2) SyncID(0)
	; sched_group_barrier mask(0x00000008) size(1) SyncID(0)
	;; [unrolled: 1-line block ×8, first 2 shown]
	s_clause 0x2
	scratch_store_b128 off, v[161:164], off offset:320
	scratch_store_b128 off, v[69:72], off offset:96
	;; [unrolled: 1-line block ×3, first 2 shown]
	s_clause 0x1
	scratch_load_b128 v[69:72], off, off offset:160
	scratch_load_b128 v[73:76], off, off offset:176
	scratch_store_b128 off, v[165:168], off offset:336 ; 16-byte Folded Spill
	s_wait_dscnt 0x0
	scratch_store_b128 off, v[9:12], off offset:1328 ; 16-byte Folded Spill
	s_wait_loadcnt 0x0
	v_wmma_f32_16x16x16_f16 v[69:76], v[249:252], v[105:108], v[69:76]
	scratch_load_b128 v[249:252], off, off offset:1024 th:TH_LOAD_LU ; 16-byte Folded Reload
	s_clause 0x1
	scratch_store_b128 off, v[69:72], off offset:160
	scratch_store_b128 off, v[73:76], off offset:176
	s_clause 0x1
	scratch_load_b128 v[69:72], off, off offset:64
	scratch_load_b128 v[73:76], off, off offset:80
	s_wait_loadcnt 0x2
	v_wmma_f32_16x16x16_f16 v[233:240], v[249:252], v[109:112], v[233:240]
	s_clause 0x1
	scratch_store_b128 off, v[233:236], off offset:192
	scratch_store_b128 off, v[237:240], off offset:208
	s_clause 0x1
	scratch_load_b128 v[233:236], off, off offset:288
	scratch_load_b128 v[237:240], off, off offset:304
	s_wait_loadcnt 0x0
	v_wmma_f32_16x16x16_f16 v[233:240], v[249:252], v[17:20], v[233:240]
	;; [unrolled: 8-line block ×3, first 2 shown]
	s_clause 0x1
	scratch_store_b128 off, v[233:236], off offset:352
	scratch_store_b128 off, v[237:240], off offset:368
	scratch_load_b128 v[233:236], off, off offset:1040 th:TH_LOAD_LU ; 16-byte Folded Reload
	s_wait_loadcnt 0x0
	v_nop
	v_wmma_f32_16x16x16_f16 v[241:248], v[233:236], v[17:20], v[241:248]
	v_wmma_f32_16x16x16_f16 v[69:76], v[233:236], v[109:112], v[69:76]
	; sched_group_barrier mask(0x00000008) size(1) SyncID(0)
	; sched_group_barrier mask(0x00000200) size(1) SyncID(0)
	s_clause 0x1
	scratch_store_b128 off, v[69:72], off offset:64
	scratch_store_b128 off, v[73:76], off offset:80
	s_clause 0x1
	scratch_load_b128 v[69:72], off, off offset:128
	scratch_load_b128 v[73:76], off, off offset:144
	s_wait_loadcnt 0x0
	v_wmma_f32_16x16x16_f16 v[69:76], v[233:236], v[105:108], v[69:76]
	v_wmma_f32_16x16x16_f16 v[61:68], v[233:236], v[77:80], v[61:68]
	ds_store_b128 v117, v[37:40] offset:16416
	v_add_nc_u32_e32 v37, v254, v29
	scratch_load_b128 v[29:32], off, off offset:1088 th:TH_LOAD_LU ; 16-byte Folded Reload
	s_clause 0x1
	scratch_store_b128 off, v[69:72], off offset:128
	scratch_store_b128 off, v[73:76], off offset:144
	s_clause 0x3
	scratch_load_b128 v[69:72], off, off offset:224
	scratch_load_b128 v[73:76], off, off offset:240
	scratch_load_b128 v[233:236], off, off
	scratch_load_b128 v[237:240], off, off offset:16
	buffer_load_b128 v[37:40], v37, s[12:15], null offen
	; sched_group_barrier mask(0x00000008) size(1) SyncID(0)
	; sched_group_barrier mask(0x00000020) size(1) SyncID(0)
	;; [unrolled: 1-line block ×4, first 2 shown]
	s_wait_loadcnt 0x5
	v_wmma_f32_16x16x16_f16 v[153:160], v[29:32], v[77:80], v[153:160]
	v_wmma_f32_16x16x16_f16 v[145:152], v[29:32], v[17:20], v[145:152]
	;; [unrolled: 1-line block ×4, first 2 shown]
	ds_load_b128 v[29:32], v253 offset:9216
	v_wmma_f32_16x16x16_f16 v[193:200], v[21:24], v[105:108], v[193:200]
	v_wmma_f32_16x16x16_f16 v[209:216], v[21:24], v[17:20], v[209:216]
	;; [unrolled: 1-line block ×3, first 2 shown]
	ds_load_b128 v[21:24], v253 offset:8704
	v_wmma_f32_16x16x16_f16 v[225:232], v[249:252], v[77:80], v[225:232]
	scratch_load_b128 v[249:252], off, off offset:1008 th:TH_LOAD_LU ; 16-byte Folded Reload
	ds_store_b128 v117, v[41:44] offset:16432
	scratch_load_b128 v[41:44], off, off offset:1056 th:TH_LOAD_LU ; 16-byte Folded Reload
	; sched_group_barrier mask(0x00000100) size(2) SyncID(0)
	; sched_group_barrier mask(0x00000008) size(1) SyncID(0)
	;; [unrolled: 1-line block ×12, first 2 shown]
	s_wait_loadcnt 0x1
	v_wmma_f32_16x16x16_f16 v[69:76], v[249:252], v[77:80], v[69:76]
	v_wmma_f32_16x16x16_f16 v[233:240], v[249:252], v[109:112], v[233:240]
	s_wait_loadcnt 0x0
	v_wmma_f32_16x16x16_f16 v[89:96], v[41:44], v[105:108], v[89:96]
	ds_load_2addr_stride64_b64 v[33:36], v118 offset0:52 offset1:53
	ds_store_b128 v117, v[57:60] offset:16400
	s_clause 0x1
	scratch_store_b128 off, v[69:72], off offset:224
	scratch_store_b128 off, v[73:76], off offset:240
	s_clause 0x1
	scratch_load_b128 v[69:72], off, off offset:96
	scratch_load_b128 v[73:76], off, off offset:112
	ds_load_2addr_stride64_b64 v[49:52], v118 offset0:38 offset1:39
	ds_load_2addr_stride64_b64 v[45:48], v118 offset0:36 offset1:37
	ds_store_b128 v117, v[53:56] offset:16384
	v_add_nc_u32_e32 v53, v254, v119
	v_add_nc_u32_e32 v57, v254, v120
	ds_load_2addr_stride64_b64 v[117:120], v118 offset0:54 offset1:55
	v_wmma_f32_16x16x16_f16 v[81:88], v[41:44], v[17:20], v[81:88]
	v_wmma_f32_16x16x16_f16 v[97:104], v[41:44], v[109:112], v[97:104]
	s_clause 0x1
	buffer_load_b128 v[53:56], v53, s[12:15], null offen
	buffer_load_b128 v[57:60], v57, s[12:15], null offen
	v_wmma_f32_16x16x16_f16 v[0:7], v[41:44], v[77:80], v[0:7]
	s_clause 0x1
	scratch_store_b128 off, v[233:236], off
	scratch_store_b128 off, v[237:240], off offset:16
	; sched_group_barrier mask(0x00000008) size(2) SyncID(0)
	; sched_group_barrier mask(0x00000008) size(1) SyncID(0)
	;; [unrolled: 1-line block ×57, first 2 shown]
	s_wait_loadcnt 0x2
	v_wmma_f32_16x16x16_f16 v[69:76], v[249:252], v[17:20], v[69:76]
	s_clause 0x1
	scratch_load_b128 v[13:16], off, off offset:256
	scratch_load_b128 v[17:20], off, off offset:272
	s_clause 0x1
	scratch_store_b128 off, v[69:72], off offset:96
	scratch_store_b128 off, v[73:76], off offset:112
	s_wait_loadcnt 0x0
	v_wmma_f32_16x16x16_f16 v[13:20], v[249:252], v[105:108], v[13:20]
	s_clause 0x1
	scratch_store_b128 off, v[13:16], off offset:256
	scratch_store_b128 off, v[17:20], off offset:272
	; sched_barrier mask(0x00000000)
	scratch_load_b32 v253, off, off offset:1248 th:TH_LOAD_LU ; 4-byte Folded Reload
	v_perm_b32 v249, v60, v56, 0x5040100
	v_perm_b32 v251, v60, v56, 0x7060302
	scratch_load_b32 v60, off, off offset:1256 th:TH_LOAD_LU ; 4-byte Folded Reload
	v_perm_b32 v10, v37, v25, 0x5040100
	v_perm_b32 v12, v37, v25, 0x7060302
	;; [unrolled: 1-line block ×8, first 2 shown]
	scratch_load_b128 v[37:40], off, off offset:1296 th:TH_LOAD_LU ; 16-byte Folded Reload
	s_wait_dscnt 0x2
	v_dual_mov_b32 v27, v45 :: v_dual_mov_b32 v28, v46
	v_perm_b32 v13, v58, v54, 0x5040100
	v_perm_b32 v15, v58, v54, 0x7060302
	;; [unrolled: 1-line block ×4, first 2 shown]
	v_dual_mov_b32 v55, v49 :: v_dual_mov_b32 v56, v50
	v_mov_b32_e32 v177, v201
	v_mov_b32_e32 v161, v217
	v_perm_b32 v9, v57, v53, 0x5040100
	v_perm_b32 v11, v57, v53, 0x7060302
	v_dual_mov_b32 v178, v202 :: v_dual_mov_b32 v179, v203
	v_dual_mov_b32 v180, v204 :: v_dual_mov_b32 v181, v205
	;; [unrolled: 1-line block ×3, first 2 shown]
	v_mov_b32_e32 v184, v208
	v_dual_mov_b32 v162, v218 :: v_dual_mov_b32 v163, v219
	v_dual_mov_b32 v164, v220 :: v_dual_mov_b32 v165, v221
	;; [unrolled: 1-line block ×3, first 2 shown]
	v_mov_b32_e32 v168, v224
	s_wait_loadcnt 0x0
	v_dual_mov_b32 v58, v255 :: v_dual_mov_b32 v25, v37
	v_dual_mov_b32 v26, v38 :: v_dual_mov_b32 v45, v39
	v_mov_b32_e32 v46, v40
	scratch_load_b128 v[37:40], off, off offset:1312 th:TH_LOAD_LU ; 16-byte Folded Reload
	s_wait_dscnt 0x0
	s_barrier_signal -1
	s_barrier_wait -1
	s_clause 0x3
	scratch_load_b128 v[233:236], off, off offset:320
	scratch_load_b128 v[237:240], off, off offset:336
	scratch_load_b128 v[73:76], off, off offset:1168 th:TH_LOAD_LU
	scratch_load_b32 v59, off, off offset:1488
	s_wait_loadcnt 0x4
	v_dual_mov_b32 v54, v38 :: v_dual_mov_b32 v49, v39
	v_dual_mov_b32 v50, v40 :: v_dual_mov_b32 v53, v37
	s_wait_loadcnt 0x1
	v_wmma_f32_16x16x16_f16 v[233:240], v[73:76], v[25:28], v[233:240]
	v_wmma_f32_16x16x16_f16 v[169:176], v[73:76], v[45:48], v[169:176]
	scratch_load_b128 v[38:41], off, off offset:1264 th:TH_LOAD_LU ; 16-byte Folded Reload
	s_clause 0x1
	scratch_store_b128 off, v[233:236], off offset:320
	scratch_store_b128 off, v[237:240], off offset:336
	v_dual_mov_b32 v236, v76 :: v_dual_mov_b32 v235, v75
	v_dual_mov_b32 v234, v74 :: v_dual_mov_b32 v233, v73
	s_wait_loadcnt 0x0
	v_wmma_f32_16x16x16_f16 v[177:184], v[38:41], v[45:48], v[177:184]
	v_wmma_f32_16x16x16_f16 v[129:136], v[38:41], v[53:56], v[129:136]
	;; [unrolled: 1-line block ×3, first 2 shown]
	s_clause 0x1
	scratch_load_b128 v[105:108], off, off offset:384 th:TH_LOAD_LU
	scratch_load_b128 v[109:112], off, off offset:400 th:TH_LOAD_LU
	v_dual_mov_b32 v208, v136 :: v_dual_mov_b32 v207, v135
	v_dual_mov_b32 v206, v134 :: v_dual_mov_b32 v205, v133
	v_dual_mov_b32 v204, v132 :: v_dual_mov_b32 v203, v131
	v_dual_mov_b32 v202, v130 :: v_dual_mov_b32 v201, v129
	s_clause 0x1
	scratch_load_b128 v[129:132], off, off offset:416 th:TH_LOAD_LU
	scratch_load_b128 v[133:136], off, off offset:432 th:TH_LOAD_LU
	s_wait_loadcnt 0x2
	v_wmma_f32_16x16x16_f16 v[105:112], v[38:41], v[25:28], v[105:112]
	scratch_load_b128 v[38:41], off, off offset:816 th:TH_LOAD_LU ; 16-byte Folded Reload
	s_wait_loadcnt 0x0
	v_wmma_f32_16x16x16_f16 v[185:192], v[38:41], v[25:28], v[185:192]
	v_wmma_f32_16x16x16_f16 v[129:136], v[38:41], v[45:48], v[129:136]
	;; [unrolled: 1-line block ×3, first 2 shown]
	scratch_load_b32 v57, off, off offset:1484 ; 4-byte Folded Reload
	s_wait_loadcnt 0x0
	ds_load_b128 v[69:72], v57
	scratch_load_b32 v255, off, off offset:1472 ; 4-byte Folded Reload
	s_wait_dscnt 0x0
	scratch_store_b128 off, v[69:72], off offset:1296 ; 16-byte Folded Spill
	s_wait_loadcnt 0x0
	ds_load_2addr_stride64_b64 v[69:72], v255 offset0:32 offset1:33
	scratch_load_b32 v37, off, off offset:1492 ; 4-byte Folded Reload
	s_wait_dscnt 0x0
	scratch_store_b128 off, v[69:72], off offset:1312 ; 16-byte Folded Spill
	scratch_load_b128 v[69:72], off, off offset:1280 th:TH_LOAD_LU ; 16-byte Folded Reload
	s_wait_loadcnt 0x0
	ds_store_b128 v37, v[69:72]
	scratch_load_b32 v42, off, off offset:944 th:TH_LOAD_LU ; 4-byte Folded Reload
	s_wait_loadcnt 0x0
	buffer_load_b128 v[69:72], v42, s[8:11], null offen offset:256
	s_wait_loadcnt 0x0
	scratch_store_b128 off, v[69:72], off offset:1392 ; 16-byte Folded Spill
	ds_load_2addr_stride64_b64 v[69:72], v255 offset0:34 offset1:35
	s_wait_dscnt 0x0
	scratch_store_b128 off, v[69:72], off offset:1408 ; 16-byte Folded Spill
	v_dual_mov_b32 v72, v41 :: v_dual_mov_b32 v71, v40
	v_dual_mov_b32 v70, v39 :: v_dual_mov_b32 v69, v38
	scratch_load_b128 v[38:41], off, off offset:912 th:TH_LOAD_LU ; 16-byte Folded Reload
	s_wait_loadcnt 0x0
	ds_store_b128 v37, v[38:41] offset:16
	scratch_load_b32 v38, off, off offset:880 th:TH_LOAD_LU ; 4-byte Folded Reload
	s_wait_loadcnt 0x0
	buffer_load_b128 v[38:41], v38, s[8:11], null offen offset:256
	s_wait_loadcnt 0x0
	scratch_store_b128 off, v[38:41], off offset:1440 ; 16-byte Folded Spill
	scratch_load_b128 v[38:41], off, off offset:976 th:TH_LOAD_LU ; 16-byte Folded Reload
	s_wait_loadcnt 0x0
	v_wmma_f32_16x16x16_f16 v[145:152], v[38:41], v[53:56], v[145:152]
	v_wmma_f32_16x16x16_f16 v[153:160], v[38:41], v[45:48], v[153:160]
	;; [unrolled: 1-line block ×3, first 2 shown]
	v_mov_b32_e32 v72, v41
	v_wmma_f32_16x16x16_f16 v[137:144], v[38:41], v[25:28], v[137:144]
	v_dual_mov_b32 v71, v40 :: v_dual_mov_b32 v70, v39
	v_mov_b32_e32 v69, v38
	ds_load_2addr_stride64_b64 v[38:41], v255 offset0:38 offset1:39
	s_wait_dscnt 0x0
	scratch_store_b128 off, v[38:41], off offset:1264 ; 16-byte Folded Spill
	ds_load_b128 v[38:41], v57 offset:512
	s_wait_dscnt 0x0
	scratch_store_b128 off, v[38:41], off offset:1424 ; 16-byte Folded Spill
	scratch_load_b128 v[38:41], off, off offset:688 th:TH_LOAD_LU ; 16-byte Folded Reload
	s_wait_loadcnt 0x0
	ds_store_b128 v37, v[38:41] offset:32
	s_clause 0x1
	scratch_load_b128 v[39:42], off, off offset:624 th:TH_LOAD_LU
	scratch_load_b32 v38, off, off offset:656 th:TH_LOAD_LU
	s_wait_loadcnt 0x1
	v_wmma_f32_16x16x16_f16 v[89:96], v[39:42], v[49:52], v[89:96]
	v_wmma_f32_16x16x16_f16 v[97:104], v[39:42], v[25:28], v[97:104]
	s_wait_loadcnt 0x0
	buffer_load_b128 v[113:116], v38, s[8:11], null offen offset:256
	v_wmma_f32_16x16x16_f16 v[0:7], v[39:42], v[45:48], v[0:7]
	v_wmma_f32_16x16x16_f16 v[81:88], v[39:42], v[53:56], v[81:88]
	scratch_load_b128 v[38:41], off, off offset:592 th:TH_LOAD_LU ; 16-byte Folded Reload
	s_wait_loadcnt 0x0
	ds_store_b128 v37, v[38:41] offset:48
	s_clause 0x1
	scratch_load_b128 v[37:40], off, off offset:32
	scratch_load_b128 v[41:44], off, off offset:48
	ds_store_b128 v59, v[13:16] offset:16400
	s_wait_loadcnt 0x0
	v_wmma_f32_16x16x16_f16 v[37:44], v[73:76], v[53:56], v[37:44]
	s_clause 0x1
	scratch_load_b128 v[73:76], off, off offset:160
	scratch_load_b128 v[77:80], off, off offset:176
	s_clause 0x1
	scratch_store_b128 off, v[37:40], off offset:32
	scratch_store_b128 off, v[41:44], off offset:48
	ds_load_b128 v[37:40], v57 offset:2048
	scratch_load_b128 v[41:44], off, off offset:784 th:TH_LOAD_LU ; 16-byte Folded Reload
	s_wait_dscnt 0x0
	scratch_store_b128 off, v[37:40], off offset:1168 ; 16-byte Folded Spill
	ds_load_b128 v[37:40], v57 offset:2560
	ds_store_b128 v59, v[9:12] offset:16384
	v_wmma_f32_16x16x16_f16 v[121:128], v[69:72], v[49:52], v[121:128]
	ds_load_b128 v[69:72], v57 offset:1024
	v_add_nc_u32_e32 v9, v254, v253
	s_wait_dscnt 0x2
	scratch_store_b128 off, v[37:40], off offset:1152 ; 16-byte Folded Spill
	buffer_load_b128 v[37:40], v9, s[12:15], null offen
	s_wait_dscnt 0x0
	scratch_store_b128 off, v[69:72], off offset:1184 ; 16-byte Folded Spill
	buffer_load_b128 v[69:72], v8, s[8:11], null offen
	ds_load_b128 v[8:11], v57 offset:3072
	s_wait_dscnt 0x0
	scratch_store_b128 off, v[8:11], off offset:1136 ; 16-byte Folded Spill
	ds_load_b128 v[8:11], v57 offset:3584
	s_wait_dscnt 0x0
	scratch_store_b128 off, v[8:11], off offset:1120 ; 16-byte Folded Spill
	s_clause 0x1
	scratch_load_b128 v[8:11], off, off offset:128
	scratch_load_b128 v[12:15], off, off offset:144
	s_wait_loadcnt 0x5
	v_wmma_f32_16x16x16_f16 v[73:80], v[233:236], v[49:52], v[73:80]
	s_clause 0x1
	scratch_load_b128 v[233:236], off, off offset:192
	scratch_load_b128 v[237:240], off, off offset:208
	s_clause 0x1
	scratch_store_b128 off, v[73:76], off offset:160
	scratch_store_b128 off, v[77:80], off offset:176
	scratch_load_b128 v[73:76], off, off offset:560 th:TH_LOAD_LU ; 16-byte Folded Reload
	s_wait_loadcnt 0x1
	v_wmma_f32_16x16x16_f16 v[233:240], v[41:44], v[25:28], v[233:240]
	s_clause 0x1
	scratch_store_b128 off, v[233:236], off offset:192
	scratch_store_b128 off, v[237:240], off offset:208
	s_clause 0x1
	scratch_load_b128 v[233:236], off, off offset:288
	scratch_load_b128 v[237:240], off, off offset:304
	s_wait_loadcnt 0x0
	v_wmma_f32_16x16x16_f16 v[233:240], v[41:44], v[53:56], v[233:240]
	s_clause 0x1
	scratch_store_b128 off, v[233:236], off offset:288
	scratch_store_b128 off, v[237:240], off offset:304
	s_clause 0x1
	scratch_load_b128 v[233:236], off, off offset:352
	scratch_load_b128 v[237:240], off, off offset:368
	s_wait_loadcnt 0x0
	v_wmma_f32_16x16x16_f16 v[233:240], v[41:44], v[49:52], v[233:240]
	v_wmma_f32_16x16x16_f16 v[225:232], v[41:44], v[45:48], v[225:232]
	scratch_load_b128 v[41:44], off, off offset:848 th:TH_LOAD_LU ; 16-byte Folded Reload
	s_clause 0x1
	scratch_store_b128 off, v[233:236], off offset:352
	scratch_store_b128 off, v[237:240], off offset:368
	s_clause 0x1
	scratch_load_b128 v[233:236], off, off offset:64
	scratch_load_b128 v[237:240], off, off offset:80
	s_wait_loadcnt 0x2
	v_wmma_f32_16x16x16_f16 v[8:15], v[41:44], v[49:52], v[8:15]
	v_wmma_f32_16x16x16_f16 v[241:248], v[41:44], v[53:56], v[241:248]
	s_clause 0x1
	scratch_store_b128 off, v[8:11], off offset:128
	scratch_store_b128 off, v[12:15], off offset:144
	v_add_nc_u32_e32 v9, v254, v60
	s_wait_loadcnt 0x0
	v_wmma_f32_16x16x16_f16 v[233:240], v[41:44], v[25:28], v[233:240]
	v_wmma_f32_16x16x16_f16 v[61:68], v[41:44], v[45:48], v[61:68]
	buffer_load_b128 v[41:44], v9, s[12:15], null offen
	s_clause 0x1
	scratch_load_b128 v[8:11], off, off
	scratch_load_b128 v[12:15], off, off offset:16
	s_clause 0x1
	scratch_store_b128 off, v[233:236], off offset:64
	scratch_store_b128 off, v[237:240], off offset:80
	s_wait_loadcnt 0x0
	v_wmma_f32_16x16x16_f16 v[8:15], v[73:76], v[25:28], v[8:15]
	scratch_load_b128 v[25:28], off, off offset:528 th:TH_LOAD_LU ; 16-byte Folded Reload
	s_clause 0x1
	scratch_store_b128 off, v[8:11], off
	scratch_store_b128 off, v[12:15], off offset:16
	s_clause 0x2
	scratch_load_b128 v[9:12], off, off offset:224
	scratch_load_b128 v[13:16], off, off offset:240
	scratch_load_b32 v8, off, off offset:1252 th:TH_LOAD_LU
	s_wait_loadcnt 0x1
	v_wmma_f32_16x16x16_f16 v[9:16], v[73:76], v[45:48], v[9:16]
	s_clause 0x1
	scratch_store_b128 off, v[9:12], off offset:224
	scratch_store_b128 off, v[13:16], off offset:240
	s_clause 0x1
	scratch_load_b128 v[9:12], off, off offset:96
	scratch_load_b128 v[13:16], off, off offset:112
	s_wait_loadcnt 0x0
	v_wmma_f32_16x16x16_f16 v[9:16], v[73:76], v[53:56], v[9:16]
	s_clause 0x1
	scratch_store_b128 off, v[9:12], off offset:96
	scratch_store_b128 off, v[13:16], off offset:112
	ds_load_b128 v[9:12], v57 offset:8192
	s_wait_dscnt 0x0
	scratch_store_b128 off, v[9:12], off offset:1072 ; 16-byte Folded Spill
	s_clause 0x1
	scratch_load_b128 v[9:12], off, off offset:256
	scratch_load_b128 v[13:16], off, off offset:272
	s_wait_loadcnt 0x0
	v_wmma_f32_16x16x16_f16 v[9:16], v[73:76], v[49:52], v[9:16]
	scratch_load_b128 v[73:76], off, off offset:1360 th:TH_LOAD_LU ; 16-byte Folded Reload
	v_dual_mov_b32 v45, v105 :: v_dual_mov_b32 v46, v106
	v_mov_b32_e32 v47, v107
	s_clause 0x1
	scratch_store_b128 off, v[9:12], off offset:256
	scratch_store_b128 off, v[13:16], off offset:272
	scratch_load_b128 v[11:14], off, off offset:720 th:TH_LOAD_LU ; 16-byte Folded Reload
	v_dual_mov_b32 v48, v108 :: v_dual_mov_b32 v49, v109
	v_dual_mov_b32 v50, v110 :: v_dual_mov_b32 v51, v111
	s_wait_loadcnt 0x0
	v_dual_mov_b32 v52, v112 :: v_dual_mov_b32 v9, v11
	v_dual_mov_b32 v10, v12 :: v_dual_mov_b32 v11, v33
	;; [unrolled: 1-line block ×3, first 2 shown]
	v_mov_b32_e32 v34, v14
	s_delay_alu instid0(VALU_DEP_2) | instskip(NEXT) | instid1(VALU_DEP_2)
	v_wmma_f32_16x16x16_f16 v[97:104], v[73:76], v[9:12], v[97:104]
	v_wmma_f32_16x16x16_f16 v[0:7], v[73:76], v[33:36], v[0:7]
	ds_store_b128 v59, v[17:20] offset:16416
	scratch_load_b128 v[15:18], off, off offset:448 th:TH_LOAD_LU ; 16-byte Folded Reload
	s_clause 0x3
	scratch_store_b128 off, v[97:100], off offset:528
	scratch_store_b128 off, v[101:104], off offset:544
	;; [unrolled: 1-line block ×4, first 2 shown]
	v_mov_b32_e32 v97, v113
	scratch_load_b128 v[101:104], off, off offset:1440 ; 16-byte Folded Reload
	v_dual_mov_b32 v98, v114 :: v_dual_mov_b32 v99, v115
	v_mov_b32_e32 v100, v116
	scratch_load_b128 v[113:116], off, off offset:1424 ; 16-byte Folded Reload
	s_wait_loadcnt 0x2
	v_dual_mov_b32 v13, v15 :: v_dual_mov_b32 v14, v16
	v_dual_mov_b32 v15, v117 :: v_dual_mov_b32 v16, v118
	;; [unrolled: 1-line block ×3, first 2 shown]
	v_add_nc_u32_e32 v17, v254, v8
	s_delay_alu instid0(VALU_DEP_3)
	v_wmma_f32_16x16x16_f16 v[81:88], v[73:76], v[13:16], v[81:88]
	ds_load_b128 v[0:3], v57 offset:9216
	s_clause 0x1
	scratch_store_b128 off, v[81:84], off offset:592
	scratch_store_b128 off, v[85:88], off offset:608
	s_clause 0x1
	scratch_load_b128 v[81:84], off, off offset:192 th:TH_LOAD_LU
	scratch_load_b128 v[85:88], off, off offset:208 th:TH_LOAD_LU
	s_wait_dscnt 0x0
	scratch_store_b128 off, v[0:3], off offset:1088 ; 16-byte Folded Spill
	ds_load_b128 v[0:3], v57 offset:9728
	v_wmma_f32_16x16x16_f16 v[89:96], v[73:76], v[117:120], v[89:96]
	scratch_load_b128 v[73:76], off, off offset:1376 th:TH_LOAD_LU ; 16-byte Folded Reload
	s_clause 0x1
	scratch_store_b128 off, v[89:92], off offset:624
	scratch_store_b128 off, v[93:96], off offset:640
	s_wait_dscnt 0x0
	scratch_store_b128 off, v[0:3], off offset:1056 ; 16-byte Folded Spill
	s_clause 0x1
	scratch_load_b128 v[0:3], off, off offset:32
	scratch_load_b128 v[4:7], off, off offset:48
	s_wait_loadcnt 0x0
	v_wmma_f32_16x16x16_f16 v[0:7], v[73:76], v[13:16], v[0:7]
	s_clause 0x1
	scratch_store_b128 off, v[0:3], off offset:32
	scratch_store_b128 off, v[4:7], off offset:48
	ds_load_b128 v[0:3], v57 offset:10752
	v_wmma_f32_16x16x16_f16 v[169:176], v[73:76], v[33:36], v[169:176]
	v_wmma_f32_16x16x16_f16 v[45:52], v[25:28], v[9:12], v[45:52]
	s_clause 0x2
	scratch_store_b128 off, v[169:172], off offset:784
	scratch_store_b128 off, v[45:48], off offset:384
	;; [unrolled: 1-line block ×3, first 2 shown]
	buffer_load_b128 v[45:48], v17, s[12:15], null offen
	ds_load_2addr_stride64_b64 v[17:20], v255 offset0:50 offset1:51
	v_wmma_f32_16x16x16_f16 v[185:192], v[21:24], v[9:12], v[185:192]
	scratch_store_b128 off, v[173:176], off offset:800 ; 16-byte Folded Spill
	v_dual_mov_b32 v172, v72 :: v_dual_mov_b32 v171, v71
	v_mov_b32_e32 v170, v70
	s_clause 0x1
	scratch_store_b128 off, v[185:188], off offset:880
	scratch_store_b128 off, v[189:192], off offset:896
	scratch_load_b32 v185, off, off offset:1260 th:TH_LOAD_LU ; 4-byte Folded Reload
	v_mov_b32_e32 v169, v69
	s_wait_dscnt 0x1
	scratch_store_b128 off, v[0:3], off offset:1024 ; 16-byte Folded Spill
	s_clause 0x2
	scratch_load_b128 v[0:3], off, off offset:160
	scratch_load_b128 v[4:7], off, off offset:176
	;; [unrolled: 1-line block ×3, first 2 shown]
	s_wait_dscnt 0x0
	scratch_store_b128 off, v[17:20], off offset:1280 ; 16-byte Folded Spill
	s_wait_loadcnt 0x3
	v_add_nc_u32_e32 v17, v254, v185
	buffer_load_b128 v[49:52], v17, s[12:15], null offen
	ds_load_b128 v[17:20], v57 offset:8704
	v_wmma_f32_16x16x16_f16 v[161:168], v[25:28], v[117:120], v[161:168]
	s_clause 0x1
	scratch_store_b128 off, v[161:164], off offset:448
	scratch_store_b128 off, v[165:168], off offset:464
	s_clause 0x1
	scratch_load_b128 v[161:164], off, off offset:320 th:TH_LOAD_LU
	scratch_load_b128 v[165:168], off, off offset:336 th:TH_LOAD_LU
	s_wait_dscnt 0x0
	scratch_store_b128 off, v[17:20], off offset:1104 ; 16-byte Folded Spill
	s_wait_loadcnt 0x0
	v_wmma_f32_16x16x16_f16 v[161:168], v[73:76], v[9:12], v[161:168]
	v_mov_b32_e32 v77, v76
	v_mov_b32_e32 v76, v75
	;; [unrolled: 1-line block ×4, first 2 shown]
	scratch_load_b32 v73, off, off offset:1236 th:TH_LOAD_LU ; 4-byte Folded Reload
	v_wmma_f32_16x16x16_f16 v[0:7], v[74:77], v[117:120], v[0:7]
	v_wmma_f32_16x16x16_f16 v[193:200], v[21:24], v[117:120], v[193:200]
	;; [unrolled: 1-line block ×4, first 2 shown]
	v_mov_b32_e32 v17, v225
	s_clause 0x1
	scratch_store_b128 off, v[0:3], off offset:160
	scratch_store_b128 off, v[4:7], off offset:176
	scratch_load_b128 v[0:3], off, off offset:752 th:TH_LOAD_LU ; 16-byte Folded Reload
	s_clause 0x1
	scratch_store_b128 off, v[129:132], off offset:416
	scratch_store_b128 off, v[133:136], off offset:432
	s_clause 0x1
	scratch_load_b128 v[129:132], off, off offset:352 th:TH_LOAD_LU
	scratch_load_b128 v[133:136], off, off offset:368 th:TH_LOAD_LU
	v_dual_mov_b32 v18, v226 :: v_dual_mov_b32 v19, v227
	v_dual_mov_b32 v20, v228 :: v_dual_mov_b32 v21, v229
	;; [unrolled: 1-line block ×3, first 2 shown]
	v_mov_b32_e32 v24, v232
	s_clause 0x1
	scratch_store_b128 off, v[193:196], off offset:976
	scratch_store_b128 off, v[197:200], off offset:992
	s_clause 0x1
	scratch_load_b128 v[225:228], off, off offset:224 th:TH_LOAD_LU
	scratch_load_b128 v[229:232], off, off offset:240 th:TH_LOAD_LU
	s_clause 0x1
	scratch_store_b128 off, v[209:212], off offset:912
	scratch_store_b128 off, v[213:216], off offset:928
	s_wait_loadcnt 0x4
	v_wmma_f32_16x16x16_f16 v[17:24], v[0:3], v[33:36], v[17:24]
	s_clause 0x1
	scratch_store_b128 off, v[17:20], off offset:720
	scratch_store_b128 off, v[21:24], off offset:736
	ds_load_b128 v[17:20], v57 offset:11264
	s_wait_dscnt 0x0
	scratch_store_b128 off, v[17:20], off offset:1040 ; 16-byte Folded Spill
	ds_load_b128 v[17:20], v57 offset:11776
	s_wait_loadcnt 0x2
	v_wmma_f32_16x16x16_f16 v[129:136], v[0:3], v[117:120], v[129:136]
	v_wmma_f32_16x16x16_f16 v[177:184], v[25:28], v[33:36], v[177:184]
	s_clause 0x1
	scratch_store_b128 off, v[177:180], off offset:944
	scratch_store_b128 off, v[181:184], off offset:960
	s_clause 0x1
	scratch_load_b128 v[177:180], off, off offset:288 th:TH_LOAD_LU
	scratch_load_b128 v[181:184], off, off offset:304 th:TH_LOAD_LU
	s_wait_dscnt 0x0
	scratch_store_b128 off, v[17:20], off offset:1008 ; 16-byte Folded Spill
	scratch_load_b128 v[17:20], off, off offset:1344 th:TH_LOAD_LU ; 16-byte Folded Reload
	s_wait_loadcnt 0x1
	v_wmma_f32_16x16x16_f16 v[177:184], v[0:3], v[13:16], v[177:184]
	v_wmma_f32_16x16x16_f16 v[81:88], v[0:3], v[9:12], v[81:88]
	s_clause 0x1
	scratch_load_b128 v[0:3], off, off offset:64
	scratch_load_b128 v[4:7], off, off offset:80
	s_wait_loadcnt 0x0
	v_wmma_f32_16x16x16_f16 v[0:7], v[17:20], v[9:12], v[0:7]
	s_clause 0x1
	scratch_store_b128 off, v[0:3], off offset:64
	scratch_store_b128 off, v[4:7], off offset:80
	s_clause 0x1
	scratch_load_b128 v[0:3], off, off offset:128
	scratch_load_b128 v[4:7], off, off offset:144
	s_wait_loadcnt 0x0
	v_wmma_f32_16x16x16_f16 v[0:7], v[17:20], v[117:120], v[0:7]
	ds_store_b128 v59, v[249:252] offset:16432
	ds_load_b128 v[249:252], v57 offset:10240
	v_wmma_f32_16x16x16_f16 v[61:68], v[17:20], v[33:36], v[61:68]
	v_wmma_f32_16x16x16_f16 v[153:160], v[29:32], v[33:36], v[153:160]
	v_wmma_f32_16x16x16_f16 v[145:152], v[29:32], v[13:16], v[145:152]
	v_wmma_f32_16x16x16_f16 v[121:128], v[29:32], v[117:120], v[121:128]
	v_wmma_f32_16x16x16_f16 v[137:144], v[29:32], v[9:12], v[137:144]
	v_wmma_f32_16x16x16_f16 v[201:208], v[25:28], v[13:16], v[201:208]
	v_dual_mov_b32 v25, v241 :: v_dual_mov_b32 v26, v242
	v_dual_mov_b32 v27, v243 :: v_dual_mov_b32 v28, v244
	;; [unrolled: 1-line block ×4, first 2 shown]
	s_clause 0x1
	scratch_store_b128 off, v[0:3], off offset:128
	scratch_store_b128 off, v[4:7], off offset:144
	s_clause 0x1
	scratch_load_b128 v[0:3], off, off
	scratch_load_b128 v[4:7], off, off offset:16
	v_wmma_f32_16x16x16_f16 v[25:32], v[17:20], v[13:16], v[25:32]
	ds_load_2addr_stride64_b64 v[193:196], v255 offset0:54 offset1:55
	ds_load_2addr_stride64_b64 v[237:240], v255 offset0:52 offset1:53
	;; [unrolled: 1-line block ×3, first 2 shown]
	ds_load_b128 v[217:220], v57 offset:1536
	ds_load_2addr_stride64_b64 v[221:224], v255 offset0:36 offset1:37
	s_clause 0x1
	scratch_store_b128 off, v[25:28], off offset:752
	scratch_store_b128 off, v[29:32], off offset:768
	s_clause 0x2
	scratch_load_b128 v[25:28], off, off offset:1328 th:TH_LOAD_LU
	scratch_load_b128 v[17:20], off, off offset:96
	scratch_load_b128 v[21:24], off, off offset:112
	s_clause 0x1
	scratch_store_b128 off, v[201:204], off offset:480
	scratch_store_b128 off, v[205:208], off offset:496
	v_mov_b32_e32 v208, v88
	scratch_store_b128 off, v[61:64], off offset:848 ; 16-byte Folded Spill
	v_dual_mov_b32 v207, v87 :: v_dual_mov_b32 v206, v86
	v_dual_mov_b32 v205, v85 :: v_dual_mov_b32 v204, v84
	;; [unrolled: 1-line block ×3, first 2 shown]
	v_mov_b32_e32 v201, v81
	s_clause 0x1
	scratch_load_b128 v[85:88], off, off offset:1408
	scratch_load_b128 v[81:84], off, off offset:1312
	s_wait_dscnt 0x0
	v_dual_mov_b32 v173, v217 :: v_dual_mov_b32 v248, v224
	v_dual_mov_b32 v247, v223 :: v_dual_mov_b32 v246, v222
	;; [unrolled: 1-line block ×4, first 2 shown]
	s_clause 0x1
	scratch_load_b128 v[217:220], off, off offset:256 th:TH_LOAD_LU
	scratch_load_b128 v[221:224], off, off offset:272 th:TH_LOAD_LU
	scratch_store_b128 off, v[65:68], off offset:864 ; 16-byte Folded Spill
	s_clause 0x1
	scratch_load_b32 v62, off, off offset:1216 th:TH_LOAD_LU
	scratch_load_b32 v61, off, off offset:1200 th:TH_LOAD_LU
	v_mov_b32_e32 v255, v58
	s_clause 0x5
	scratch_store_b128 off, v[153:156], off offset:688
	scratch_store_b128 off, v[157:160], off offset:704
	;; [unrolled: 1-line block ×6, first 2 shown]
	; sched_group_barrier mask(0x00000008) size(1) SyncID(0)
	; sched_group_barrier mask(0x00000100) size(2) SyncID(0)
	;; [unrolled: 1-line block ×84, first 2 shown]
	s_wait_loadcnt 0x8
	v_wmma_f32_16x16x16_f16 v[0:7], v[25:28], v[9:12], v[0:7]
	v_wmma_f32_16x16x16_f16 v[225:232], v[25:28], v[33:36], v[225:232]
	s_wait_loadcnt 0x6
	v_wmma_f32_16x16x16_f16 v[17:24], v[25:28], v[13:16], v[17:24]
	s_clause 0x1
	scratch_store_b128 off, v[0:3], off
	scratch_store_b128 off, v[4:7], off offset:16
	s_clause 0x1
	scratch_load_b128 v[2:5], off, off offset:1296
	scratch_load_b32 v1, off, off offset:1232 th:TH_LOAD_LU
	s_clause 0x1
	scratch_store_b128 off, v[17:20], off offset:96
	scratch_store_b128 off, v[21:24], off offset:112
	s_wait_loadcnt 0x4
	v_wmma_f32_16x16x16_f16 v[217:224], v[25:28], v[117:120], v[217:224]
	s_clause 0x1
	scratch_load_b32 v120, off, off offset:1244 th:TH_LOAD_LU
	scratch_load_b32 v119, off, off offset:1240 th:TH_LOAD_LU
	; sched_barrier mask(0x00000000)
	v_dual_mov_b32 v109, v53 :: v_dual_mov_b32 v156, v56
	s_clause 0x1
	scratch_load_b32 v0, off, off offset:512
	scratch_load_b128 v[9:12], off, off offset:1264
	v_dual_mov_b32 v25, v87 :: v_dual_mov_b32 v110, v54
	v_dual_mov_b32 v111, v237 :: v_dual_mov_b32 v154, v54
	;; [unrolled: 1-line block ×4, first 2 shown]
	v_mov_b32_e32 v153, v53
	scratch_load_b128 v[53:56], off, off offset:1280 ; 16-byte Folded Reload
	v_dual_mov_b32 v30, v82 :: v_dual_add_nc_u32 v185, s17, v185
	v_dual_mov_b32 v29, v81 :: v_dual_add_nc_u32 v8, s17, v8
	;; [unrolled: 1-line block ×5, first 2 shown]
	s_wait_loadcnt 0x4
	v_dual_mov_b32 v23, v247 :: v_dual_add_nc_u32 v120, s17, v120
	s_wait_loadcnt 0x3
	v_dual_mov_b32 v24, v248 :: v_dual_add_nc_u32 v119, s17, v119
	v_dual_mov_b32 v34, v86 :: v_dual_add_nc_u32 v73, 0x80, v73
	v_add_nc_u32_e32 v1, 0x80, v1
	v_dual_mov_b32 v26, v88 :: v_dual_add_nc_u32 v61, 0x80, v61
	v_dual_mov_b32 v33, v85 :: v_dual_add_nc_u32 v62, 0x80, v62
	v_dual_mov_b32 v79, v239 :: v_dual_mov_b32 v20, v194
	v_dual_mov_b32 v19, v193 :: v_dual_mov_b32 v108, v196
	v_mov_b32_e32 v107, v195
	s_add_co_i32 s18, s18, 2
	v_dual_mov_b32 v21, v83 :: v_dual_mov_b32 v112, v238
	s_wait_alu 0xfffe
	s_cmp_lt_i32 s18, s6
	s_wait_loadcnt 0x1
	v_dual_mov_b32 v35, v9 :: v_dual_add_nc_u32 v0, s17, v0
	v_mov_b32_e32 v28, v12
	v_dual_mov_b32 v36, v10 :: v_dual_mov_b32 v27, v11
	scratch_store_b32 off, v0, off offset:512 ; 4-byte Folded Spill
	s_wait_loadcnt 0x0
	v_dual_mov_b32 v17, v53 :: v_dual_mov_b32 v106, v56
	v_dual_mov_b32 v18, v54 :: v_dual_mov_b32 v105, v55
	s_cbranch_scc1 .LBB3_10
; %bb.11:
	s_wait_dscnt 0x0
	s_barrier_signal -1
	s_barrier_wait -1
	s_clause 0x5
	scratch_load_b128 v[209:212], off, off offset:384 th:TH_LOAD_LU
	scratch_load_b128 v[213:216], off, off offset:400 th:TH_LOAD_LU
	scratch_load_b32 v8, off, off offset:1460 th:TH_LOAD_LU
	scratch_load_b128 v[57:60], off, off offset:944
	scratch_load_b128 v[61:64], off, off offset:960
	scratch_load_b32 v118, off, off offset:1468 th:TH_LOAD_LU
	v_perm_b32 v17, v41, v37, 0x5040100
	v_perm_b32 v19, v41, v37, 0x7060302
	;; [unrolled: 1-line block ×8, first 2 shown]
	v_dual_mov_b32 v41, v81 :: v_dual_mov_b32 v42, v82
	v_dual_mov_b32 v43, v245 :: v_dual_mov_b32 v44, v246
	s_clause 0x2
	scratch_load_b128 v[89:92], off, off offset:480 th:TH_LOAD_LU
	scratch_load_b128 v[93:96], off, off offset:496 th:TH_LOAD_LU
	scratch_load_b32 v117, off, off offset:1464 th:TH_LOAD_LU
	v_dual_mov_b32 v245, v83 :: v_dual_mov_b32 v246, v84
	v_dual_mov_b32 v16, v12 :: v_dual_mov_b32 v15, v11
	;; [unrolled: 1-line block ×3, first 2 shown]
	v_perm_b32 v18, v49, v45, 0x5040100
	v_perm_b32 v20, v49, v45, 0x7060302
	;; [unrolled: 1-line block ×8, first 2 shown]
	v_dual_mov_b32 v45, v85 :: v_dual_mov_b32 v46, v86
	v_dual_mov_b32 v47, v13 :: v_dual_mov_b32 v48, v14
	v_dual_mov_b32 v13, v87 :: v_dual_mov_b32 v14, v88
	v_dual_mov_b32 v186, v237 :: v_dual_mov_b32 v187, v238
	v_dual_mov_b32 v188, v239 :: v_dual_mov_b32 v189, v240
	s_clause 0x5
	scratch_load_b128 v[119:122], off, off offset:416 th:TH_LOAD_LU
	scratch_load_b128 v[145:148], off, off offset:912 th:TH_LOAD_LU
	;; [unrolled: 1-line block ×6, first 2 shown]
	v_dual_mov_b32 v73, v137 :: v_dual_mov_b32 v74, v138
	v_dual_mov_b32 v75, v139 :: v_dual_mov_b32 v76, v140
	;; [unrolled: 1-line block ×4, first 2 shown]
	s_clause 0x2
	scratch_load_b128 v[137:140], off, off offset:1168 th:TH_LOAD_LU
	scratch_load_b128 v[105:108], off, off offset:160 th:TH_LOAD_LU
	;; [unrolled: 1-line block ×3, first 2 shown]
	s_mov_b32 s7, 0
	s_mov_b32 s6, s25
	s_wait_alu 0xfffe
	s_mul_u64 s[2:3], s[2:3], s[6:7]
	s_wait_loadcnt 0x10
	v_wmma_f32_16x16x16_f16 v[209:216], v[2:5], v[41:44], v[209:216]
	s_wait_loadcnt 0xf
	ds_store_b128 v8, v[69:72]
	s_clause 0x1
	scratch_load_b128 v[65:68], off, off offset:448 th:TH_LOAD_LU
	scratch_load_b128 v[69:72], off, off offset:464 th:TH_LOAD_LU
	s_wait_loadcnt 0xf
	v_wmma_f32_16x16x16_f16 v[57:64], v[2:5], v[245:248], v[57:64]
	s_wait_loadcnt 0xe
	ds_load_b128 v[9:12], v118
	; sched_group_barrier mask(0x00000008) size(1) SyncID(0)
	; sched_group_barrier mask(0x00000200) size(1) SyncID(0)
	;; [unrolled: 1-line block ×4, first 2 shown]
	s_clause 0x1
	scratch_store_b128 off, v[57:60], off offset:944
	scratch_store_b128 off, v[61:64], off offset:960
	s_clause 0x1
	scratch_load_b128 v[57:60], off, off offset:688
	scratch_load_b128 v[61:64], off, off offset:704
	s_wait_loadcnt 0xe
	v_wmma_f32_16x16x16_f16 v[89:96], v[2:5], v[45:48], v[89:96]
	; sched_group_barrier mask(0x00000008) size(1) SyncID(0)
	s_wait_dscnt 0x0
	scratch_store_b128 off, v[9:12], off offset:288 ; 16-byte Folded Spill
	s_wait_loadcnt 0xd
	ds_load_2addr_stride64_b64 v[9:12], v117 offset0:32 offset1:33
	; sched_group_barrier mask(0x00000100) size(1) SyncID(0)
	s_wait_loadcnt 0x2
	v_wmma_f32_16x16x16_f16 v[65:72], v[2:5], v[13:16], v[65:72]
	s_clause 0x1
	scratch_load_b128 v[0:3], off, off offset:880 th:TH_LOAD_LU
	scratch_load_b128 v[4:7], off, off offset:896 th:TH_LOAD_LU
	s_wait_loadcnt 0x0
	v_wmma_f32_16x16x16_f16 v[0:7], v[113:116], v[41:44], v[0:7]
	v_wmma_f32_16x16x16_f16 v[119:126], v[113:116], v[245:248], v[119:126]
	ds_store_b128 v8, v[101:104] offset:16
	v_wmma_f32_16x16x16_f16 v[145:152], v[113:116], v[45:48], v[145:152]
	ds_load_2addr_stride64_b64 v[29:32], v117 offset0:36 offset1:37
	v_dual_mov_b32 v244, v7 :: v_dual_mov_b32 v243, v6
	v_dual_mov_b32 v242, v5 :: v_dual_mov_b32 v241, v4
	;; [unrolled: 1-line block ×4, first 2 shown]
	scratch_load_b128 v[0:3], off, off offset:1184 th:TH_LOAD_LU ; 16-byte Folded Reload
	v_wmma_f32_16x16x16_f16 v[81:88], v[113:116], v[13:16], v[81:88]
	ds_load_2addr_stride64_b64 v[49:52], v117 offset0:34 offset1:35
	; sched_group_barrier mask(0x00000008) size(2) SyncID(0)
	; sched_group_barrier mask(0x00000008) size(1) SyncID(0)
	;; [unrolled: 1-line block ×7, first 2 shown]
	s_wait_loadcnt 0x0
	v_wmma_f32_16x16x16_f16 v[57:64], v[0:3], v[245:248], v[57:64]
	v_wmma_f32_16x16x16_f16 v[73:80], v[0:3], v[41:44], v[73:80]
	; sched_group_barrier mask(0x00000008) size(2) SyncID(0)
	s_clause 0x1
	scratch_store_b128 off, v[57:60], off offset:688
	scratch_store_b128 off, v[61:64], off offset:704
	s_clause 0x1
	scratch_load_b128 v[57:60], off, off offset:816
	scratch_load_b128 v[61:64], off, off offset:832
	s_wait_loadcnt 0x0
	v_wmma_f32_16x16x16_f16 v[57:64], v[0:3], v[45:48], v[57:64]
	ds_store_b128 v8, v[97:100] offset:32
	; sched_group_barrier mask(0x00000008) size(1) SyncID(0)
	; sched_group_barrier mask(0x00000200) size(1) SyncID(0)
	s_clause 0x1
	scratch_store_b128 off, v[57:60], off offset:816
	scratch_store_b128 off, v[61:64], off offset:832
	s_clause 0x1
	scratch_load_b128 v[57:60], off, off offset:656
	scratch_load_b128 v[61:64], off, off offset:672
	s_wait_loadcnt 0x0
	v_wmma_f32_16x16x16_f16 v[57:64], v[0:3], v[13:16], v[57:64]
	s_clause 0x1
	scratch_load_b128 v[0:3], off, off offset:528
	scratch_load_b128 v[4:7], off, off offset:544
	ds_load_2addr_stride64_b64 v[233:236], v117 offset0:38 offset1:39
	; sched_group_barrier mask(0x00000008) size(1) SyncID(0)
	; sched_group_barrier mask(0x00000100) size(1) SyncID(0)
	s_clause 0x1
	scratch_store_b128 off, v[57:60], off offset:656
	scratch_store_b128 off, v[61:64], off offset:672
	s_clause 0x1
	scratch_load_b128 v[57:60], off, off offset:560
	scratch_load_b128 v[61:64], off, off offset:576
	s_wait_loadcnt 0x2
	v_wmma_f32_16x16x16_f16 v[0:7], v[173:176], v[41:44], v[0:7]
	ds_load_b128 v[21:24], v118 offset:512
	; sched_group_barrier mask(0x00000008) size(1) SyncID(0)
	; sched_group_barrier mask(0x00000100) size(1) SyncID(0)
	scratch_store_b128 off, v[0:3], off offset:528 ; 16-byte Folded Spill
	s_wait_loadcnt 0x0
	v_wmma_f32_16x16x16_f16 v[57:64], v[173:176], v[245:248], v[57:64]
	scratch_store_b128 off, v[4:7], off offset:544 ; 16-byte Folded Spill
	v_dual_mov_b32 v4, v249 :: v_dual_mov_b32 v5, v250
	v_mov_b32_e32 v6, v251
	s_clause 0x1
	scratch_store_b128 off, v[57:60], off offset:560
	scratch_store_b128 off, v[61:64], off offset:576
	s_clause 0x1
	scratch_load_b128 v[57:60], off, off offset:592
	scratch_load_b128 v[61:64], off, off offset:608
	v_mov_b32_e32 v7, v252
	scratch_load_b128 v[0:3], off, off offset:1040 th:TH_LOAD_LU ; 16-byte Folded Reload
	s_wait_dscnt 0x0
	scratch_store_b128 off, v[21:24], off offset:320 ; 16-byte Folded Spill
	s_wait_loadcnt 0x1
	v_wmma_f32_16x16x16_f16 v[57:64], v[173:176], v[45:48], v[57:64]
	; sched_group_barrier mask(0x00000008) size(2) SyncID(0)
	s_clause 0x1
	scratch_store_b128 off, v[57:60], off offset:592
	scratch_store_b128 off, v[61:64], off offset:608
	s_clause 0x1
	scratch_load_b128 v[57:60], off, off offset:624
	scratch_load_b128 v[61:64], off, off offset:640
	s_wait_loadcnt 0x0
	v_wmma_f32_16x16x16_f16 v[57:64], v[173:176], v[13:16], v[57:64]
	ds_store_b128 v8, v[169:172] offset:48
	v_wmma_f32_16x16x16_f16 v[161:168], v[137:140], v[41:44], v[161:168]
	ds_load_b128 v[21:24], v118 offset:1024
	scratch_load_b128 v[169:172], off, off offset:720 th:TH_LOAD_LU ; 16-byte Folded Reload
	s_clause 0x1
	scratch_store_b128 off, v[57:60], off offset:624
	scratch_store_b128 off, v[61:64], off offset:640
	s_clause 0x3
	scratch_load_b128 v[57:60], off, off offset:784
	scratch_load_b128 v[61:64], off, off offset:800
	scratch_load_b32 v8, off, off offset:1456 th:TH_LOAD_LU
	scratch_load_b128 v[173:176], off, off offset:736 th:TH_LOAD_LU
	; sched_group_barrier mask(0x00000008) size(1) SyncID(0)
	; sched_group_barrier mask(0x00000200) size(1) SyncID(0)
	;; [unrolled: 1-line block ×4, first 2 shown]
	s_wait_dscnt 0x0
	scratch_store_b128 off, v[21:24], off offset:512 ; 16-byte Folded Spill
	s_wait_loadcnt 0x2
	v_wmma_f32_16x16x16_f16 v[57:64], v[137:140], v[245:248], v[57:64]
	ds_load_b128 v[21:24], v118 offset:1536
	v_wmma_f32_16x16x16_f16 v[105:112], v[137:140], v[13:16], v[105:112]
	; sched_group_barrier mask(0x00000008) size(1) SyncID(0)
	; sched_group_barrier mask(0x00000100) size(1) SyncID(0)
	s_clause 0x1
	scratch_store_b128 off, v[57:60], off offset:784
	scratch_store_b128 off, v[61:64], off offset:800
	s_clause 0x1
	scratch_load_b128 v[57:60], off, off offset:32
	scratch_load_b128 v[61:64], off, off offset:48
	v_mov_b32_e32 v116, v112
	v_dual_mov_b32 v115, v111 :: v_dual_mov_b32 v114, v110
	v_dual_mov_b32 v113, v109 :: v_dual_mov_b32 v112, v108
	v_mov_b32_e32 v111, v107
	v_mov_b32_e32 v110, v106
	;; [unrolled: 1-line block ×3, first 2 shown]
	scratch_load_b128 v[105:108], off, off offset:1088 th:TH_LOAD_LU ; 16-byte Folded Reload
	s_wait_dscnt 0x0
	scratch_store_b128 off, v[21:24], off offset:352 ; 16-byte Folded Spill
	s_wait_loadcnt 0x1
	v_wmma_f32_16x16x16_f16 v[57:64], v[137:140], v[45:48], v[57:64]
	scratch_load_b128 v[137:140], off, off offset:1152 th:TH_LOAD_LU ; 16-byte Folded Reload
	; sched_group_barrier mask(0x00000008) size(2) SyncID(0)
	s_clause 0x1
	scratch_store_b128 off, v[57:60], off offset:32
	scratch_store_b128 off, v[61:64], off offset:48
	s_clause 0x1
	scratch_load_b128 v[57:60], off, off offset:64 th:TH_LOAD_LU
	scratch_load_b128 v[61:64], off, off offset:80 th:TH_LOAD_LU
	s_wait_loadcnt 0x2
	v_wmma_f32_16x16x16_f16 v[201:208], v[137:140], v[41:44], v[201:208]
	ds_store_b128 v8, v[17:20] offset:16384
	v_wmma_f32_16x16x16_f16 v[169:176], v[137:140], v[245:248], v[169:176]
	ds_load_b128 v[17:20], v118 offset:2048
	v_wmma_f32_16x16x16_f16 v[177:184], v[137:140], v[45:48], v[177:184]
	s_clause 0x1
	scratch_store_b128 off, v[201:204], off offset:192
	scratch_store_b128 off, v[205:208], off offset:208
	s_clause 0x1
	scratch_load_b128 v[197:200], off, off offset:752 th:TH_LOAD_LU
	scratch_load_b128 v[201:204], off, off offset:768 th:TH_LOAD_LU
	; sched_group_barrier mask(0x00000008) size(1) SyncID(0)
	; sched_group_barrier mask(0x00000200) size(1) SyncID(0)
	;; [unrolled: 1-line block ×5, first 2 shown]
	s_wait_dscnt 0x0
	scratch_store_b128 off, v[17:20], off offset:1184 ; 16-byte Folded Spill
	ds_load_b128 v[17:20], v118 offset:2560
	v_wmma_f32_16x16x16_f16 v[129:136], v[137:140], v[13:16], v[129:136]
	s_clause 0x1
	scratch_load_b128 v[137:140], off, off offset:848 th:TH_LOAD_LU
	scratch_load_b128 v[141:144], off, off offset:864 th:TH_LOAD_LU
	; sched_group_barrier mask(0x00000100) size(1) SyncID(0)
	s_wait_dscnt 0x0
	scratch_store_b128 off, v[17:20], off offset:1168 ; 16-byte Folded Spill
	scratch_load_b128 v[17:20], off, off offset:1136 th:TH_LOAD_LU ; 16-byte Folded Reload
	s_wait_loadcnt 0x0
	v_wmma_f32_16x16x16_f16 v[57:64], v[17:20], v[41:44], v[57:64]
	v_wmma_f32_16x16x16_f16 v[137:144], v[17:20], v[245:248], v[137:144]
	ds_store_b128 v8, v[25:28] offset:16400
	v_wmma_f32_16x16x16_f16 v[197:204], v[17:20], v[45:48], v[197:204]
	ds_load_b128 v[21:24], v118 offset:3072
	; sched_group_barrier mask(0x00000008) size(2) SyncID(0)
	; sched_group_barrier mask(0x00000008) size(1) SyncID(0)
	;; [unrolled: 1-line block ×5, first 2 shown]
	s_wait_dscnt 0x0
	scratch_store_b128 off, v[21:24], off offset:1152 ; 16-byte Folded Spill
	s_clause 0x1
	scratch_load_b128 v[21:24], off, off offset:128
	scratch_load_b128 v[25:28], off, off offset:144
	s_wait_loadcnt 0x0
	v_wmma_f32_16x16x16_f16 v[21:28], v[17:20], v[13:16], v[21:28]
	ds_load_b128 v[17:20], v118 offset:3584
	; sched_group_barrier mask(0x00000008) size(1) SyncID(0)
	; sched_group_barrier mask(0x00000100) size(1) SyncID(0)
	s_clause 0x1
	scratch_store_b128 off, v[21:24], off offset:128
	scratch_store_b128 off, v[25:28], off offset:144
	s_clause 0x1
	scratch_load_b128 v[21:24], off, off
	scratch_load_b128 v[25:28], off, off offset:16
	s_wait_dscnt 0x0
	scratch_store_b128 off, v[17:20], off offset:1136 ; 16-byte Folded Spill
	scratch_load_b128 v[17:20], off, off offset:1120 th:TH_LOAD_LU ; 16-byte Folded Reload
	s_wait_loadcnt 0x0
	v_wmma_f32_16x16x16_f16 v[21:28], v[17:20], v[41:44], v[21:28]
	v_wmma_f32_16x16x16_f16 v[225:232], v[17:20], v[245:248], v[225:232]
	s_clause 0x1
	scratch_load_b128 v[245:248], off, off offset:944 th:TH_LOAD_LU
	scratch_load_b128 v[249:252], off, off offset:960 th:TH_LOAD_LU
	v_mov_b32_e32 v41, v53
	s_clause 0x1
	scratch_store_b128 off, v[21:24], off
	scratch_store_b128 off, v[25:28], off offset:16
	s_clause 0x1
	scratch_load_b128 v[21:24], off, off offset:96 th:TH_LOAD_LU
	scratch_load_b128 v[25:28], off, off offset:112 th:TH_LOAD_LU
	v_dual_mov_b32 v42, v54 :: v_dual_mov_b32 v43, v193
	v_dual_mov_b32 v44, v194 :: v_dual_mov_b32 v193, v55
	v_mov_b32_e32 v194, v56
	; sched_group_barrier mask(0x00000008) size(2) SyncID(0)
	s_wait_loadcnt 0x0
	v_wmma_f32_16x16x16_f16 v[21:28], v[17:20], v[45:48], v[21:28]
	ds_store_b128 v8, v[33:36] offset:16416
	v_wmma_f32_16x16x16_f16 v[217:224], v[17:20], v[13:16], v[217:224]
	scratch_load_b128 v[17:20], off, off offset:1072 th:TH_LOAD_LU ; 16-byte Folded Reload
	ds_load_b128 v[13:16], v118 offset:8192
	v_dual_mov_b32 v104, v28 :: v_dual_mov_b32 v103, v27
	v_dual_mov_b32 v102, v26 :: v_dual_mov_b32 v101, v25
	;; [unrolled: 1-line block ×4, first 2 shown]
	scratch_load_b128 v[25:28], off, off offset:1104 th:TH_LOAD_LU ; 16-byte Folded Reload
	v_dual_mov_b32 v33, v153 :: v_dual_mov_b32 v34, v154
	v_dual_mov_b32 v35, v186 :: v_dual_mov_b32 v36, v187
	;; [unrolled: 1-line block ×3, first 2 shown]
	s_clause 0x1
	scratch_load_b128 v[153:156], off, off offset:560 th:TH_LOAD_LU
	scratch_load_b128 v[157:160], off, off offset:576 th:TH_LOAD_LU
	; sched_group_barrier mask(0x00000008) size(1) SyncID(0)
	; sched_group_barrier mask(0x00000200) size(1) SyncID(0)
	;; [unrolled: 1-line block ×4, first 2 shown]
	s_wait_dscnt 0x0
	scratch_store_b128 off, v[13:16], off offset:1120 ; 16-byte Folded Spill
	s_wait_loadcnt 0x3
	v_wmma_f32_16x16x16_f16 v[209:216], v[17:20], v[33:36], v[209:216]
	ds_load_2addr_stride64_b64 v[21:24], v117 offset0:48 offset1:49
	v_wmma_f32_16x16x16_f16 v[245:252], v[17:20], v[186:189], v[245:252]
	v_wmma_f32_16x16x16_f16 v[89:96], v[17:20], v[41:44], v[89:96]
	;; [unrolled: 1-line block ×3, first 2 shown]
	s_clause 0x1
	scratch_store_b128 off, v[209:212], off offset:384
	scratch_store_b128 off, v[213:216], off offset:400
	ds_store_b128 v8, v[37:40] offset:16432
	; sched_group_barrier mask(0x00000008) size(1) SyncID(0)
	; sched_group_barrier mask(0x00000100) size(1) SyncID(0)
	;; [unrolled: 1-line block ×5, first 2 shown]
	scratch_store_b128 off, v[65:68], off offset:448 ; 16-byte Folded Spill
	s_wait_loadcnt 0x2
	v_wmma_f32_16x16x16_f16 v[237:244], v[25:28], v[33:36], v[237:244]
	ds_load_2addr_stride64_b64 v[209:212], v117 offset0:52 offset1:53
	v_wmma_f32_16x16x16_f16 v[119:126], v[25:28], v[186:189], v[119:126]
	ds_load_2addr_stride64_b64 v[13:16], v117 offset0:50 offset1:51
	v_wmma_f32_16x16x16_f16 v[145:152], v[25:28], v[41:44], v[145:152]
	v_wmma_f32_16x16x16_f16 v[81:88], v[25:28], v[193:196], v[81:88]
	;; [unrolled: 1-line block ×3, first 2 shown]
	s_clause 0x5
	scratch_store_b128 off, v[119:122], off offset:416
	scratch_store_b128 off, v[123:126], off offset:432
	;; [unrolled: 1-line block ×6, first 2 shown]
	s_clause 0x1
	scratch_load_b128 v[73:76], off, off offset:688
	scratch_load_b128 v[77:80], off, off offset:704
	scratch_store_b128 off, v[85:88], off offset:992 ; 16-byte Folded Spill
	s_clause 0x1
	scratch_load_b128 v[81:84], off, off offset:656
	scratch_load_b128 v[85:88], off, off offset:672
	v_dual_mov_b32 v65, v237 :: v_dual_mov_b32 v66, v238
	v_dual_mov_b32 v67, v239 :: v_dual_mov_b32 v68, v240
	;; [unrolled: 1-line block ×4, first 2 shown]
	s_clause 0x1
	scratch_store_b128 off, v[145:148], off offset:912
	scratch_store_b128 off, v[149:152], off offset:928
	; sched_group_barrier mask(0x00000008) size(1) SyncID(0)
	; sched_group_barrier mask(0x00000100) size(1) SyncID(0)
	;; [unrolled: 1-line block ×7, first 2 shown]
	s_wait_loadcnt 0x2
	v_wmma_f32_16x16x16_f16 v[73:80], v[105:108], v[186:189], v[73:80]
	ds_load_2addr_stride64_b64 v[125:128], v117 offset0:54 offset1:55
	; sched_group_barrier mask(0x00000008) size(1) SyncID(0)
	; sched_group_barrier mask(0x00000100) size(1) SyncID(0)
	s_clause 0x1
	scratch_store_b128 off, v[73:76], off offset:688
	scratch_store_b128 off, v[77:80], off offset:704
	s_clause 0x1
	scratch_load_b128 v[73:76], off, off offset:816 th:TH_LOAD_LU
	scratch_load_b128 v[77:80], off, off offset:832 th:TH_LOAD_LU
	s_wait_loadcnt 0x0
	v_wmma_f32_16x16x16_f16 v[73:80], v[105:108], v[41:44], v[73:80]
	ds_load_b128 v[37:40], v118 offset:8704
	v_wmma_f32_16x16x16_f16 v[81:88], v[105:108], v[193:196], v[81:88]
	scratch_load_b128 v[105:108], off, off offset:1056 th:TH_LOAD_LU ; 16-byte Folded Reload
	; sched_group_barrier mask(0x00000008) size(1) SyncID(0)
	; sched_group_barrier mask(0x00000100) size(1) SyncID(0)
	s_clause 0x1
	scratch_store_b128 off, v[81:84], off offset:656
	scratch_store_b128 off, v[85:88], off offset:672
	s_clause 0x1
	scratch_load_b128 v[81:84], off, off offset:528
	scratch_load_b128 v[85:88], off, off offset:544
	s_wait_dscnt 0x0
	scratch_store_b128 off, v[37:40], off offset:1200 ; 16-byte Folded Spill
	s_wait_loadcnt 0x0
	v_wmma_f32_16x16x16_f16 v[81:88], v[105:108], v[33:36], v[81:88]
	v_wmma_f32_16x16x16_f16 v[153:160], v[105:108], v[186:189], v[153:160]
	; sched_group_barrier mask(0x00000008) size(2) SyncID(0)
	; sched_group_barrier mask(0x00000008) size(1) SyncID(0)
	;; [unrolled: 1-line block ×3, first 2 shown]
	s_clause 0x1
	scratch_store_b128 off, v[81:84], off offset:528
	scratch_store_b128 off, v[85:88], off offset:544
	s_clause 0x1
	scratch_load_b128 v[81:84], off, off offset:592
	scratch_load_b128 v[85:88], off, off offset:608
	s_wait_loadcnt 0x0
	v_wmma_f32_16x16x16_f16 v[81:88], v[105:108], v[41:44], v[81:88]
	ds_load_b128 v[37:40], v118 offset:9216
	; sched_group_barrier mask(0x00000008) size(1) SyncID(0)
	; sched_group_barrier mask(0x00000100) size(1) SyncID(0)
	s_clause 0x1
	scratch_store_b128 off, v[81:84], off offset:592
	scratch_store_b128 off, v[85:88], off offset:608
	s_clause 0x1
	scratch_load_b128 v[81:84], off, off offset:624
	scratch_load_b128 v[85:88], off, off offset:640
	s_wait_dscnt 0x0
	scratch_store_b128 off, v[37:40], off offset:1216 ; 16-byte Folded Spill
	s_wait_loadcnt 0x0
	v_wmma_f32_16x16x16_f16 v[81:88], v[105:108], v[193:196], v[81:88]
	ds_load_b128 v[37:40], v118 offset:9728
	v_wmma_f32_16x16x16_f16 v[161:168], v[4:7], v[33:36], v[161:168]
	; sched_group_barrier mask(0x00000008) size(1) SyncID(0)
	; sched_group_barrier mask(0x00000100) size(1) SyncID(0)
	s_clause 0x1
	scratch_store_b128 off, v[81:84], off offset:624
	scratch_store_b128 off, v[85:88], off offset:640
	s_clause 0x1
	scratch_load_b128 v[81:84], off, off offset:784
	scratch_load_b128 v[85:88], off, off offset:800
	s_wait_dscnt 0x0
	scratch_store_b128 off, v[37:40], off offset:1088 ; 16-byte Folded Spill
	s_wait_loadcnt 0x0
	v_wmma_f32_16x16x16_f16 v[81:88], v[4:7], v[186:189], v[81:88]
	; sched_group_barrier mask(0x00000008) size(2) SyncID(0)
	s_clause 0x1
	scratch_store_b128 off, v[81:84], off offset:784
	scratch_store_b128 off, v[85:88], off offset:800
	s_clause 0x1
	scratch_load_b128 v[81:84], off, off offset:32
	scratch_load_b128 v[85:88], off, off offset:48
	s_wait_loadcnt 0x0
	v_wmma_f32_16x16x16_f16 v[81:88], v[4:7], v[41:44], v[81:88]
	v_wmma_f32_16x16x16_f16 v[109:116], v[4:7], v[193:196], v[109:116]
	ds_load_b128 v[4:7], v118 offset:10240
	; sched_group_barrier mask(0x00000008) size(1) SyncID(0)
	; sched_group_barrier mask(0x00000200) size(1) SyncID(0)
	; sched_group_barrier mask(0x00000008) size(1) SyncID(0)
	; sched_group_barrier mask(0x00000100) size(1) SyncID(0)
	s_clause 0x1
	scratch_store_b128 off, v[81:84], off offset:32
	scratch_store_b128 off, v[85:88], off offset:48
	s_clause 0x1
	scratch_load_b128 v[81:84], off, off offset:192
	scratch_load_b128 v[85:88], off, off offset:208
	v_dual_mov_b32 v244, v116 :: v_dual_mov_b32 v243, v115
	v_dual_mov_b32 v242, v114 :: v_dual_mov_b32 v241, v113
	;; [unrolled: 1-line block ×4, first 2 shown]
	s_wait_dscnt 0x0
	scratch_store_b128 off, v[4:7], off offset:1104 ; 16-byte Folded Spill
	scratch_load_b128 v[4:7], off, off offset:1024 th:TH_LOAD_LU ; 16-byte Folded Reload
	s_wait_loadcnt 0x0
	v_wmma_f32_16x16x16_f16 v[81:88], v[4:7], v[33:36], v[81:88]
	ds_load_b128 v[37:40], v118 offset:10752
	v_wmma_f32_16x16x16_f16 v[169:176], v[4:7], v[186:189], v[169:176]
	v_wmma_f32_16x16x16_f16 v[177:184], v[4:7], v[41:44], v[177:184]
	;; [unrolled: 1-line block ×4, first 2 shown]
	ds_load_b128 v[4:7], v118 offset:11264
	v_wmma_f32_16x16x16_f16 v[137:144], v[0:3], v[186:189], v[137:144]
	s_clause 0x3
	scratch_store_b128 off, v[81:84], off offset:192
	scratch_store_b128 off, v[85:88], off offset:208
	;; [unrolled: 1-line block ×4, first 2 shown]
	s_clause 0x1
	scratch_load_b128 v[53:56], off, off offset:128
	scratch_load_b128 v[57:60], off, off offset:144
	s_clause 0x3
	scratch_store_b128 off, v[169:172], off offset:720
	scratch_store_b128 off, v[173:176], off offset:736
	;; [unrolled: 1-line block ×4, first 2 shown]
	; sched_group_barrier mask(0x00000008) size(1) SyncID(0)
	; sched_group_barrier mask(0x00000100) size(1) SyncID(0)
	;; [unrolled: 1-line block ×8, first 2 shown]
	s_wait_dscnt 0x1
	scratch_store_b128 off, v[37:40], off offset:1056 ; 16-byte Folded Spill
	s_wait_dscnt 0x0
	scratch_store_b128 off, v[4:7], off offset:1072 ; 16-byte Folded Spill
	ds_load_b128 v[4:7], v118 offset:11776
	v_wmma_f32_16x16x16_f16 v[197:204], v[0:3], v[41:44], v[197:204]
	; sched_group_barrier mask(0x00000100) size(1) SyncID(0)
	s_clause 0x1
	scratch_store_b128 off, v[197:200], off offset:752
	scratch_store_b128 off, v[201:204], off offset:768
	s_wait_dscnt 0x0
	scratch_store_b128 off, v[4:7], off offset:1024 ; 16-byte Folded Spill
	s_wait_loadcnt 0x0
	v_wmma_f32_16x16x16_f16 v[53:60], v[0:3], v[193:196], v[53:60]
	scratch_load_b128 v[0:3], off, off offset:1008 th:TH_LOAD_LU ; 16-byte Folded Reload
	; sched_group_barrier mask(0x00000008) size(2) SyncID(0)
	s_clause 0x1
	scratch_store_b128 off, v[53:56], off offset:128
	scratch_store_b128 off, v[57:60], off offset:144
	s_clause 0x1
	scratch_load_b128 v[53:56], off, off
	scratch_load_b128 v[57:60], off, off offset:16
	s_wait_loadcnt 0x2
	v_wmma_f32_16x16x16_f16 v[225:232], v[0:3], v[186:189], v[225:232]
	v_wmma_f32_16x16x16_f16 v[97:104], v[0:3], v[41:44], v[97:104]
	;; [unrolled: 1-line block ×3, first 2 shown]
	s_clause 0x1
	scratch_store_b128 off, v[225:228], off offset:224
	scratch_store_b128 off, v[229:232], off offset:240
	s_wait_loadcnt 0x0
	v_wmma_f32_16x16x16_f16 v[53:60], v[0:3], v[33:36], v[53:60]
	s_clause 0x5
	scratch_store_b128 off, v[97:100], off offset:96
	scratch_store_b128 off, v[101:104], off offset:112
	;; [unrolled: 1-line block ×4, first 2 shown]
	scratch_store_b128 off, v[53:56], off
	scratch_store_b128 off, v[57:60], off offset:16
	; sched_barrier mask(0x00000000)
	s_clause 0x4
	scratch_load_b128 v[145:148], off, off offset:384 th:TH_LOAD_LU
	scratch_load_b128 v[81:84], off, off offset:448 th:TH_LOAD_LU
	;; [unrolled: 1-line block ×3, first 2 shown]
	scratch_load_b128 v[0:3], off, off offset:288
	scratch_load_b128 v[85:88], off, off offset:464 th:TH_LOAD_LU
	v_mov_b32_e32 v173, v233
	v_dual_mov_b32 v105, v9 :: v_dual_mov_b32 v106, v10
	v_mov_b32_e32 v107, v29
	v_dual_mov_b32 v29, v11 :: v_dual_mov_b32 v174, v234
	v_dual_mov_b32 v175, v235 :: v_dual_mov_b32 v176, v236
	;; [unrolled: 1-line block ×5, first 2 shown]
	s_clause 0x2
	scratch_load_b128 v[4:7], off, off offset:416 th:TH_LOAD_LU
	scratch_load_b128 v[20:23], off, off offset:912 th:TH_LOAD_LU
	;; [unrolled: 1-line block ×3, first 2 shown]
	v_mov_b32_e32 v108, v30
	v_mov_b32_e32 v30, v12
	v_dual_mov_b32 v60, v13 :: v_dual_mov_b32 v61, v14
	v_dual_mov_b32 v62, v125 :: v_dual_mov_b32 v125, v15
	s_clause 0x3
	scratch_load_b128 v[12:15], off, off offset:320
	scratch_load_b128 v[8:11], off, off offset:432 th:TH_LOAD_LU
	scratch_load_b128 v[24:27], off, off offset:928 th:TH_LOAD_LU
	;; [unrolled: 1-line block ×3, first 2 shown]
	v_mov_b32_e32 v213, v245
	v_dual_mov_b32 v101, v49 :: v_dual_mov_b32 v102, v50
	v_dual_mov_b32 v103, v173 :: v_dual_mov_b32 v104, v174
	;; [unrolled: 1-line block ×6, first 2 shown]
	v_mov_b32_e32 v220, v252
	v_mov_b32_e32 v64, v65
	v_mov_b32_e32 v65, v66
	v_mov_b32_e32 v66, v67
	v_mov_b32_e32 v67, v68
	v_mov_b32_e32 v68, v69
	v_mov_b32_e32 v69, v70
	v_mov_b32_e32 v70, v71
	v_mov_b32_e32 v71, v72
	v_dual_mov_b32 v63, v126 :: v_dual_mov_b32 v126, v16
	s_clause 0x11
	scratch_load_b128 v[36:39], off, off offset:656 th:TH_LOAD_LU
	scratch_load_b128 v[44:47], off, off offset:512
	scratch_load_b128 v[40:43], off, off offset:672 th:TH_LOAD_LU
	scratch_load_b128 v[185:188], off, off offset:592 th:TH_LOAD_LU
	;; [unrolled: 1-line block ×3, first 2 shown]
	scratch_load_b128 v[52:55], off, off offset:352
	scratch_load_b128 v[189:192], off, off offset:608 th:TH_LOAD_LU
	scratch_load_b128 v[141:144], off, off offset:640 th:TH_LOAD_LU
	scratch_load_b128 v[245:248], off, off offset:32 th:TH_LOAD_LU
	scratch_load_b128 v[113:116], off, off offset:1184
	scratch_load_b128 v[249:252], off, off offset:48 th:TH_LOAD_LU
	scratch_load_b128 v[121:124], off, off offset:1168
	scratch_load_b128 v[193:196], off, off offset:192 th:TH_LOAD_LU
	scratch_load_b128 v[197:200], off, off offset:208 th:TH_LOAD_LU
	;; [unrolled: 1-line block ×3, first 2 shown]
	scratch_load_b128 v[169:172], off, off offset:1152
	scratch_load_b128 v[205:208], off, off offset:864 th:TH_LOAD_LU
	scratch_load_b128 v[221:224], off, off offset:1136
	; sched_group_barrier mask(0x00000100) size(1) SyncID(0)
	s_wait_loadcnt 0x1a
	v_wmma_f32_16x16x16_f16 v[213:220], v[0:3], v[29:32], v[213:220]
	v_wmma_f32_16x16x16_f16 v[145:152], v[0:3], v[105:108], v[145:152]
	;; [unrolled: 1-line block ×3, first 2 shown]
	s_wait_loadcnt 0x19
	v_wmma_f32_16x16x16_f16 v[81:88], v[0:3], v[173:176], v[81:88]
	v_dual_mov_b32 v0, v29 :: v_dual_mov_b32 v1, v30
	v_dual_mov_b32 v2, v31 :: v_dual_mov_b32 v3, v32
	s_clause 0x1
	scratch_load_b128 v[28:31], off, off offset:688 th:TH_LOAD_LU
	scratch_load_b128 v[32:35], off, off offset:704 th:TH_LOAD_LU
	; sched_group_barrier mask(0x00000008) size(2) SyncID(0)
	; sched_group_barrier mask(0x00000100) size(1) SyncID(0)
	; sched_group_barrier mask(0x00000008) size(2) SyncID(0)
	; sched_group_barrier mask(0x00000100) size(1) SyncID(0)
	scratch_store_b128 off, v[0:3], off offset:1008 ; 16-byte Folded Spill
	s_wait_loadcnt 0x17
	v_wmma_f32_16x16x16_f16 v[64:71], v[12:15], v[105:108], v[64:71]
	s_wait_loadcnt 0x16
	v_wmma_f32_16x16x16_f16 v[4:11], v[12:15], v[0:3], v[4:11]
	;; [unrolled: 2-line block ×4, first 2 shown]
	s_clause 0x1
	scratch_load_b128 v[12:15], off, off offset:160 th:TH_LOAD_LU
	scratch_load_b128 v[16:19], off, off offset:176 th:TH_LOAD_LU
	; sched_group_barrier mask(0x00000008) size(2) SyncID(0)
	; sched_group_barrier mask(0x00000100) size(1) SyncID(0)
	;; [unrolled: 1-line block ×4, first 2 shown]
	s_wait_loadcnt 0x2
	v_wmma_f32_16x16x16_f16 v[28:35], v[44:47], v[0:3], v[28:35]
	s_wait_loadcnt 0x0
	v_wmma_f32_16x16x16_f16 v[12:19], v[44:47], v[105:108], v[12:19]
	v_wmma_f32_16x16x16_f16 v[73:80], v[44:47], v[101:104], v[73:80]
	;; [unrolled: 1-line block ×3, first 2 shown]
	s_clause 0x1
	scratch_load_b128 v[44:47], off, off offset:528 th:TH_LOAD_LU
	scratch_load_b128 v[48:51], off, off offset:544 th:TH_LOAD_LU
	v_wmma_f32_16x16x16_f16 v[153:160], v[52:55], v[0:3], v[153:160]
	; sched_group_barrier mask(0x00000008) size(2) SyncID(0)
	; sched_group_barrier mask(0x00000100) size(1) SyncID(0)
	;; [unrolled: 1-line block ×4, first 2 shown]
	s_clause 0x1
	scratch_store_b128 off, v[153:156], off offset:560
	scratch_store_b128 off, v[157:160], off offset:576
	s_clause 0x1
	scratch_load_b128 v[153:156], off, off offset:128 th:TH_LOAD_LU
	scratch_load_b128 v[157:160], off, off offset:144 th:TH_LOAD_LU
	s_wait_loadcnt 0x2
	v_wmma_f32_16x16x16_f16 v[44:51], v[52:55], v[105:108], v[44:51]
	v_wmma_f32_16x16x16_f16 v[185:192], v[52:55], v[101:104], v[185:192]
	;; [unrolled: 1-line block ×3, first 2 shown]
	s_clause 0x1
	scratch_load_b128 v[52:55], off, off offset:784 th:TH_LOAD_LU
	scratch_load_b128 v[56:59], off, off offset:800 th:TH_LOAD_LU
	v_wmma_f32_16x16x16_f16 v[161:168], v[113:116], v[105:108], v[161:168]
	; sched_group_barrier mask(0x00000008) size(2) SyncID(0)
	; sched_group_barrier mask(0x00000100) size(1) SyncID(0)
	;; [unrolled: 1-line block ×4, first 2 shown]
	s_wait_loadcnt 0x0
	v_wmma_f32_16x16x16_f16 v[52:59], v[113:116], v[0:3], v[52:59]
	v_wmma_f32_16x16x16_f16 v[245:252], v[113:116], v[101:104], v[245:252]
	;; [unrolled: 1-line block ×3, first 2 shown]
	s_clause 0x1
	scratch_load_b128 v[113:116], off, off offset:720
	scratch_load_b128 v[117:120], off, off offset:736
	v_wmma_f32_16x16x16_f16 v[193:200], v[121:124], v[105:108], v[193:200]
	; sched_group_barrier mask(0x00000008) size(2) SyncID(0)
	; sched_group_barrier mask(0x00000100) size(1) SyncID(0)
	;; [unrolled: 1-line block ×4, first 2 shown]
	s_clause 0x1
	scratch_store_b128 off, v[237:240], off offset:160
	scratch_store_b128 off, v[241:244], off offset:176
	s_clause 0x1
	scratch_load_b128 v[237:240], off, off
	scratch_load_b128 v[241:244], off, off offset:16
	s_wait_loadcnt 0x2
	v_wmma_f32_16x16x16_f16 v[113:120], v[121:124], v[0:3], v[113:120]
	v_wmma_f32_16x16x16_f16 v[177:184], v[121:124], v[101:104], v[177:184]
	;; [unrolled: 1-line block ×4, first 2 shown]
	; sched_group_barrier mask(0x00000008) size(2) SyncID(0)
	; sched_group_barrier mask(0x00000100) size(1) SyncID(0)
	;; [unrolled: 1-line block ×4, first 2 shown]
	s_clause 0x1
	scratch_store_b128 off, v[113:116], off offset:720
	scratch_store_b128 off, v[117:120], off offset:736
	s_clause 0x3
	scratch_load_b128 v[109:112], off, off offset:64 th:TH_LOAD_LU
	scratch_load_b128 v[117:120], off, off offset:752 th:TH_LOAD_LU
	;; [unrolled: 1-line block ×4, first 2 shown]
	s_wait_loadcnt 0x1
	v_wmma_f32_16x16x16_f16 v[109:116], v[169:172], v[105:108], v[109:116]
	s_wait_loadcnt 0x0
	v_wmma_f32_16x16x16_f16 v[117:124], v[169:172], v[101:104], v[117:124]
	v_wmma_f32_16x16x16_f16 v[153:160], v[169:172], v[173:176], v[153:160]
	;; [unrolled: 1-line block ×3, first 2 shown]
	; sched_group_barrier mask(0x00000008) size(2) SyncID(0)
	; sched_group_barrier mask(0x00000100) size(1) SyncID(0)
	;; [unrolled: 1-line block ×4, first 2 shown]
	s_clause 0x1
	scratch_store_b128 off, v[237:240], off
	scratch_store_b128 off, v[241:244], off offset:16
	s_clause 0x1
	scratch_load_b128 v[237:240], off, off offset:224
	scratch_load_b128 v[241:244], off, off offset:240
	s_wait_loadcnt 0x0
	v_wmma_f32_16x16x16_f16 v[237:244], v[221:224], v[0:3], v[237:244]
	v_dual_mov_b32 v0, v221 :: v_dual_mov_b32 v1, v222
	v_dual_mov_b32 v2, v223 :: v_dual_mov_b32 v3, v224
	s_clause 0x1
	scratch_store_b128 off, v[237:240], off offset:224
	scratch_store_b128 off, v[241:244], off offset:240
	s_clause 0x1
	scratch_load_b128 v[237:240], off, off offset:96
	scratch_load_b128 v[241:244], off, off offset:112
	; sched_group_barrier mask(0x00000008) size(2) SyncID(0)
	; sched_group_barrier mask(0x00000100) size(1) SyncID(0)
	s_wait_loadcnt 0x0
	v_wmma_f32_16x16x16_f16 v[237:244], v[221:224], v[101:104], v[237:244]
	s_clause 0x1
	scratch_load_b128 v[221:224], off, off offset:256 th:TH_LOAD_LU
	scratch_load_b128 v[225:228], off, off offset:272 th:TH_LOAD_LU
	s_clause 0x1
	scratch_store_b128 off, v[237:240], off offset:96
	scratch_store_b128 off, v[241:244], off offset:112
	v_dual_mov_b32 v240, v176 :: v_dual_mov_b32 v239, v175
	v_dual_mov_b32 v238, v174 :: v_dual_mov_b32 v237, v173
	s_wait_loadcnt 0x0
	v_wmma_f32_16x16x16_f16 v[221:228], v[0:3], v[173:176], v[221:228]
	s_clause 0x2
	scratch_load_b128 v[0:3], off, off offset:1120
	scratch_load_b128 v[169:172], off, off offset:224 th:TH_LOAD_LU
	scratch_load_b128 v[173:176], off, off offset:240 th:TH_LOAD_LU
	; sched_group_barrier mask(0x00000008) size(2) SyncID(0)
	; sched_group_barrier mask(0x00000100) size(1) SyncID(0)
	s_wait_loadcnt 0x2
	v_wmma_f32_16x16x16_f16 v[145:152], v[0:3], v[97:100], v[145:152]
	v_wmma_f32_16x16x16_f16 v[213:220], v[0:3], v[209:212], v[213:220]
	v_wmma_f32_16x16x16_f16 v[89:96], v[0:3], v[60:63], v[89:96]
	v_wmma_f32_16x16x16_f16 v[81:88], v[0:3], v[125:128], v[81:88]
	scratch_load_b128 v[0:3], off, off offset:1200 ; 16-byte Folded Reload
	s_clause 0x3
	scratch_store_b128 off, v[145:148], off offset:384
	scratch_store_b128 off, v[149:152], off offset:400
	;; [unrolled: 1-line block ×4, first 2 shown]
	s_clause 0x1
	scratch_load_b128 v[89:92], off, off offset:560 th:TH_LOAD_LU
	scratch_load_b128 v[93:96], off, off offset:576 th:TH_LOAD_LU
	v_dual_mov_b32 v152, v88 :: v_dual_mov_b32 v151, v87
	v_dual_mov_b32 v150, v86 :: v_dual_mov_b32 v149, v85
	;; [unrolled: 1-line block ×4, first 2 shown]
	; sched_group_barrier mask(0x00000008) size(2) SyncID(0)
	; sched_group_barrier mask(0x00000100) size(1) SyncID(0)
	; sched_group_barrier mask(0x00000008) size(2) SyncID(0)
	; sched_group_barrier mask(0x00000100) size(1) SyncID(0)
	s_wait_loadcnt 0x2
	v_wmma_f32_16x16x16_f16 v[64:71], v[0:3], v[97:100], v[64:71]
	v_wmma_f32_16x16x16_f16 v[4:11], v[0:3], v[209:212], v[4:11]
	;; [unrolled: 1-line block ×4, first 2 shown]
	scratch_load_b128 v[0:3], off, off offset:1216 ; 16-byte Folded Reload
	s_clause 0x5
	scratch_store_b128 off, v[64:67], off offset:880
	scratch_store_b128 off, v[68:71], off offset:896
	;; [unrolled: 1-line block ×6, first 2 shown]
	; sched_group_barrier mask(0x00000008) size(2) SyncID(0)
	; sched_group_barrier mask(0x00000100) size(1) SyncID(0)
	;; [unrolled: 1-line block ×4, first 2 shown]
	s_wait_loadcnt 0x0
	v_wmma_f32_16x16x16_f16 v[12:19], v[0:3], v[97:100], v[12:19]
	v_wmma_f32_16x16x16_f16 v[28:35], v[0:3], v[209:212], v[28:35]
	;; [unrolled: 1-line block ×4, first 2 shown]
	scratch_load_b128 v[0:3], off, off offset:1088 ; 16-byte Folded Reload
	v_dual_mov_b32 v88, v19 :: v_dual_mov_b32 v87, v18
	v_dual_mov_b32 v86, v17 :: v_dual_mov_b32 v85, v16
	v_dual_mov_b32 v84, v15 :: v_dual_mov_b32 v83, v14
	v_dual_mov_b32 v82, v13 :: v_dual_mov_b32 v81, v12
	s_clause 0x1
	scratch_load_b128 v[16:19], off, off offset:160 th:TH_LOAD_LU
	scratch_load_b128 v[20:23], off, off offset:176 th:TH_LOAD_LU
	s_clause 0x1
	scratch_store_b128 off, v[73:76], off offset:816
	scratch_store_b128 off, v[77:80], off offset:832
	s_clause 0x1
	scratch_load_b128 v[73:76], off, off offset:720 th:TH_LOAD_LU
	scratch_load_b128 v[77:80], off, off offset:736 th:TH_LOAD_LU
	s_clause 0x1
	scratch_store_b128 off, v[28:31], off offset:688
	scratch_store_b128 off, v[32:35], off offset:704
	s_clause 0x1
	scratch_load_b128 v[24:27], off, off
	scratch_load_b128 v[28:31], off, off offset:16
	v_dual_mov_b32 v8, v36 :: v_dual_mov_b32 v9, v37
	v_dual_mov_b32 v10, v38 :: v_dual_mov_b32 v11, v39
	;; [unrolled: 1-line block ×4, first 2 shown]
	; sched_group_barrier mask(0x00000008) size(2) SyncID(0)
	; sched_group_barrier mask(0x00000100) size(1) SyncID(0)
	;; [unrolled: 1-line block ×4, first 2 shown]
	s_wait_loadcnt 0x6
	v_wmma_f32_16x16x16_f16 v[44:51], v[0:3], v[97:100], v[44:51]
	v_wmma_f32_16x16x16_f16 v[89:96], v[0:3], v[209:212], v[89:96]
	;; [unrolled: 1-line block ×4, first 2 shown]
	scratch_load_b128 v[0:3], off, off offset:1104 ; 16-byte Folded Reload
	s_clause 0x4
	scratch_store_b128 off, v[44:47], off offset:528
	scratch_store_b128 off, v[48:51], off offset:544
	;; [unrolled: 1-line block ×5, first 2 shown]
	s_clause 0x1
	scratch_load_b128 v[137:140], off, off offset:96 th:TH_LOAD_LU
	scratch_load_b128 v[141:144], off, off offset:112 th:TH_LOAD_LU
	scratch_store_b128 off, v[189:192], off offset:608 ; 16-byte Folded Spill
	; sched_group_barrier mask(0x00000008) size(2) SyncID(0)
	; sched_group_barrier mask(0x00000100) size(1) SyncID(0)
	;; [unrolled: 1-line block ×3, first 2 shown]
	s_wait_loadcnt 0x2
	v_wmma_f32_16x16x16_f16 v[161:168], v[0:3], v[97:100], v[161:168]
	v_wmma_f32_16x16x16_f16 v[52:59], v[0:3], v[209:212], v[52:59]
	;; [unrolled: 1-line block ×4, first 2 shown]
	scratch_load_b128 v[0:3], off, off offset:1056 ; 16-byte Folded Reload
	v_dual_mov_b32 v72, v59 :: v_dual_mov_b32 v71, v58
	v_dual_mov_b32 v70, v57 :: v_dual_mov_b32 v69, v56
	;; [unrolled: 1-line block ×6, first 2 shown]
	s_wait_loadcnt 0x0
	v_wmma_f32_16x16x16_f16 v[193:200], v[0:3], v[97:100], v[193:200]
	v_wmma_f32_16x16x16_f16 v[73:80], v[0:3], v[209:212], v[73:80]
	;; [unrolled: 1-line block ×4, first 2 shown]
	scratch_load_b128 v[0:3], off, off offset:1072 ; 16-byte Folded Reload
	s_clause 0x1
	scratch_store_b128 off, v[193:196], off offset:192
	scratch_store_b128 off, v[197:200], off offset:208
	s_wait_loadcnt 0x0
	v_wmma_f32_16x16x16_f16 v[109:116], v[0:3], v[97:100], v[109:116]
	v_wmma_f32_16x16x16_f16 v[201:208], v[0:3], v[209:212], v[201:208]
	;; [unrolled: 1-line block ×4, first 2 shown]
	scratch_load_b128 v[0:3], off, off offset:1024 ; 16-byte Folded Reload
	v_dual_mov_b32 v192, v116 :: v_dual_mov_b32 v193, v201
	v_dual_mov_b32 v191, v115 :: v_dual_mov_b32 v190, v114
	;; [unrolled: 1-line block ×8, first 2 shown]
	s_clause 0x1
	scratch_store_b128 off, v[117:120], off offset:752
	scratch_store_b128 off, v[121:124], off offset:768
	s_wait_loadcnt 0x0
	v_wmma_f32_16x16x16_f16 v[24:31], v[0:3], v[97:100], v[24:31]
	v_wmma_f32_16x16x16_f16 v[221:228], v[0:3], v[125:128], v[221:228]
	;; [unrolled: 1-line block ×4, first 2 shown]
	s_clause 0x3
	scratch_store_b128 off, v[24:27], off
	scratch_store_b128 off, v[28:31], off offset:16
	scratch_store_b128 off, v[221:224], off offset:256
	;; [unrolled: 1-line block ×3, first 2 shown]
	s_wait_dscnt 0x0
	s_barrier_signal -1
	s_barrier_wait -1
	; sched_barrier mask(0x00000000)
	s_clause 0x3
	scratch_load_b128 v[0:3], off, off offset:384
	scratch_load_b128 v[4:7], off, off offset:400
	scratch_load_b128 v[24:27], off, off offset:288 th:TH_LOAD_LU
	scratch_load_b128 v[201:204], off, off offset:1008 th:TH_LOAD_LU
	v_dual_mov_b32 v49, v237 :: v_dual_mov_b32 v50, v238
	v_dual_mov_b32 v51, v239 :: v_dual_mov_b32 v52, v240
	s_clause 0x1
	scratch_load_b128 v[237:240], off, off offset:912 th:TH_LOAD_LU
	scratch_load_b128 v[241:244], off, off offset:928 th:TH_LOAD_LU
	v_dual_mov_b32 v33, v229 :: v_dual_mov_b32 v34, v230
	v_dual_mov_b32 v35, v231 :: v_dual_mov_b32 v36, v232
	;; [unrolled: 1-line block ×4, first 2 shown]
	scratch_load_b128 v[41:44], off, off offset:512 th:TH_LOAD_LU ; 16-byte Folded Reload
	v_dual_mov_b32 v236, v88 :: v_dual_mov_b32 v235, v87
	v_dual_mov_b32 v234, v86 :: v_dual_mov_b32 v233, v85
	;; [unrolled: 1-line block ×4, first 2 shown]
	s_clause 0x1
	scratch_load_b128 v[109:112], off, off offset:528 th:TH_LOAD_LU
	scratch_load_b128 v[113:116], off, off offset:544 th:TH_LOAD_LU
	v_dual_mov_b32 v124, v72 :: v_dual_mov_b32 v123, v71
	v_dual_mov_b32 v122, v70 :: v_dual_mov_b32 v121, v69
	;; [unrolled: 1-line block ×4, first 2 shown]
	s_clause 0x1
	scratch_load_b128 v[65:68], off, off offset:192 th:TH_LOAD_LU
	scratch_load_b128 v[69:72], off, off offset:208 th:TH_LOAD_LU
	s_wait_loadcnt 0x8
	v_wmma_f32_16x16x16_f16 v[145:152], v[24:27], v[49:52], v[145:152]
	v_wmma_f32_16x16x16_f16 v[0:7], v[24:27], v[105:108], v[0:7]
	s_wait_loadcnt 0x7
	v_wmma_f32_16x16x16_f16 v[213:220], v[24:27], v[201:204], v[213:220]
	s_clause 0x2
	scratch_store_b128 off, v[145:148], off offset:448
	scratch_store_b128 off, v[0:3], off offset:384
	;; [unrolled: 1-line block ×3, first 2 shown]
	s_clause 0x1
	scratch_load_b128 v[0:3], off, off offset:480 th:TH_LOAD_LU
	scratch_load_b128 v[4:7], off, off offset:496 th:TH_LOAD_LU
	s_clause 0x2
	scratch_store_b128 off, v[213:216], off offset:944
	scratch_store_b128 off, v[217:220], off offset:960
	;; [unrolled: 1-line block ×3, first 2 shown]
	s_clause 0x5
	scratch_load_b128 v[145:148], off, off offset:880 th:TH_LOAD_LU
	scratch_load_b128 v[209:212], off, off offset:416 th:TH_LOAD_LU
	;; [unrolled: 1-line block ×6, first 2 shown]
	s_wait_loadcnt 0xc
	v_mov_b32_e32 v84, v44
	v_wmma_f32_16x16x16_f16 v[229:236], v[41:44], v[105:108], v[229:236]
	v_dual_mov_b32 v83, v43 :: v_dual_mov_b32 v82, v42
	v_mov_b32_e32 v81, v41
	s_wait_loadcnt 0x6
	v_wmma_f32_16x16x16_f16 v[0:7], v[24:27], v[101:104], v[0:7]
	scratch_load_b128 v[24:27], off, off offset:320 th:TH_LOAD_LU ; 16-byte Folded Reload
	s_wait_loadcnt 0x1
	v_wmma_f32_16x16x16_f16 v[217:224], v[41:44], v[201:204], v[217:224]
	s_wait_loadcnt 0x0
	v_wmma_f32_16x16x16_f16 v[145:152], v[24:27], v[105:108], v[145:152]
	v_wmma_f32_16x16x16_f16 v[209:216], v[24:27], v[201:204], v[209:216]
	v_wmma_f32_16x16x16_f16 v[237:244], v[24:27], v[101:104], v[237:244]
	v_wmma_f32_16x16x16_f16 v[33:40], v[24:27], v[49:52], v[33:40]
	s_clause 0x1
	scratch_load_b128 v[25:28], off, off offset:816 th:TH_LOAD_LU
	scratch_load_b128 v[29:32], off, off offset:832 th:TH_LOAD_LU
	s_wait_loadcnt 0x0
	v_wmma_f32_16x16x16_f16 v[25:32], v[41:44], v[101:104], v[25:32]
	v_dual_mov_b32 v48, v15 :: v_dual_mov_b32 v47, v14
	v_dual_mov_b32 v46, v13 :: v_dual_mov_b32 v45, v12
	;; [unrolled: 1-line block ×4, first 2 shown]
	s_clause 0x1
	scratch_load_b128 v[8:11], off, off offset:352 th:TH_LOAD_LU
	scratch_load_b128 v[12:15], off, off offset:1184 th:TH_LOAD_LU
	v_wmma_f32_16x16x16_f16 v[41:48], v[81:84], v[49:52], v[41:48]
	s_clause 0x1
	scratch_load_b128 v[81:84], off, off offset:592 th:TH_LOAD_LU
	scratch_load_b128 v[85:88], off, off offset:608 th:TH_LOAD_LU
	s_wait_loadcnt 0x3
	v_wmma_f32_16x16x16_f16 v[89:96], v[8:11], v[201:204], v[89:96]
	s_wait_loadcnt 0x2
	v_wmma_f32_16x16x16_f16 v[245:252], v[12:15], v[101:104], v[245:252]
	v_wmma_f32_16x16x16_f16 v[161:168], v[12:15], v[105:108], v[161:168]
	;; [unrolled: 1-line block ×4, first 2 shown]
	s_clause 0x1
	scratch_store_b128 off, v[89:92], off offset:560
	scratch_store_b128 off, v[93:96], off offset:576
	s_clause 0x1
	scratch_load_b128 v[89:92], off, off offset:624 th:TH_LOAD_LU
	scratch_load_b128 v[93:96], off, off offset:640 th:TH_LOAD_LU
	s_clause 0x1
	scratch_store_b128 off, v[245:248], off offset:32
	scratch_store_b128 off, v[249:252], off offset:48
	v_dual_mov_b32 v252, v23 :: v_dual_mov_b32 v251, v22
	v_dual_mov_b32 v250, v21 :: v_dual_mov_b32 v249, v20
	v_dual_mov_b32 v248, v19 :: v_dual_mov_b32 v247, v18
	v_dual_mov_b32 v246, v17 :: v_dual_mov_b32 v245, v16
	s_wait_loadcnt 0x2
	v_wmma_f32_16x16x16_f16 v[81:88], v[8:11], v[101:104], v[81:88]
	s_clause 0x1
	scratch_load_b128 v[17:20], off, off offset:752 th:TH_LOAD_LU
	scratch_load_b128 v[21:24], off, off offset:768 th:TH_LOAD_LU
	v_wmma_f32_16x16x16_f16 v[245:252], v[12:15], v[49:52], v[245:252]
	scratch_load_b128 v[12:15], off, off offset:1168 th:TH_LOAD_LU ; 16-byte Folded Reload
	s_wait_loadcnt 0x3
	v_wmma_f32_16x16x16_f16 v[89:96], v[8:11], v[49:52], v[89:96]
	v_dual_mov_b32 v8, v201 :: v_dual_mov_b32 v9, v202
	v_dual_mov_b32 v10, v203 :: v_dual_mov_b32 v11, v204
	;; [unrolled: 1-line block ×6, first 2 shown]
	s_clause 0x1
	scratch_load_b128 v[73:76], off, off th:TH_LOAD_LU
	scratch_load_b128 v[77:80], off, off offset:16 th:TH_LOAD_LU
	s_wait_loadcnt 0x2
	v_wmma_f32_16x16x16_f16 v[65:72], v[12:15], v[105:108], v[65:72]
	v_wmma_f32_16x16x16_f16 v[201:208], v[12:15], v[8:11], v[201:208]
	v_wmma_f32_16x16x16_f16 v[177:184], v[12:15], v[101:104], v[177:184]
	v_wmma_f32_16x16x16_f16 v[129:136], v[12:15], v[49:52], v[129:136]
	scratch_load_b128 v[12:15], off, off offset:1152 th:TH_LOAD_LU ; 16-byte Folded Reload
	s_wait_loadcnt 0x0
	v_wmma_f32_16x16x16_f16 v[185:192], v[12:15], v[105:108], v[185:192]
	v_wmma_f32_16x16x16_f16 v[193:200], v[12:15], v[8:11], v[193:200]
	v_wmma_f32_16x16x16_f16 v[17:24], v[12:15], v[101:104], v[17:24]
	v_wmma_f32_16x16x16_f16 v[153:160], v[12:15], v[49:52], v[153:160]
	scratch_load_b128 v[12:15], off, off offset:1136 th:TH_LOAD_LU ; 16-byte Folded Reload
	s_wait_loadcnt 0x0
	v_wmma_f32_16x16x16_f16 v[73:80], v[12:15], v[105:108], v[73:80]
	v_wmma_f32_16x16x16_f16 v[137:144], v[12:15], v[101:104], v[137:144]
	s_clause 0x1
	scratch_load_b128 v[101:104], off, off offset:256 th:TH_LOAD_LU
	scratch_load_b128 v[105:108], off, off offset:272 th:TH_LOAD_LU
	v_wmma_f32_16x16x16_f16 v[169:176], v[12:15], v[8:11], v[169:176]
	s_wait_loadcnt 0x0
	v_wmma_f32_16x16x16_f16 v[101:108], v[12:15], v[49:52], v[101:108]
	s_clause 0x2
	scratch_load_b128 v[8:11], off, off offset:384
	scratch_load_b128 v[49:52], off, off offset:1120 th:TH_LOAD_LU
	scratch_load_b128 v[12:15], off, off offset:400
	s_wait_loadcnt 0x1
	v_wmma_f32_16x16x16_f16 v[0:7], v[49:52], v[60:63], v[0:7]
	s_wait_loadcnt 0x0
	v_wmma_f32_16x16x16_f16 v[8:15], v[49:52], v[97:100], v[8:15]
	s_clause 0x2
	scratch_store_b128 off, v[0:3], off offset:480
	scratch_store_b128 off, v[8:11], off offset:384
	;; [unrolled: 1-line block ×3, first 2 shown]
	scratch_load_b128 v[9:12], off, off offset:944 th:TH_LOAD_LU ; 16-byte Folded Reload
	scratch_store_b128 off, v[4:7], off offset:496 ; 16-byte Folded Spill
	s_clause 0x2
	scratch_load_b128 v[0:3], off, off offset:448 th:TH_LOAD_LU
	scratch_load_b128 v[13:16], off, off offset:960 th:TH_LOAD_LU
	;; [unrolled: 1-line block ×3, first 2 shown]
	s_wait_loadcnt 0x1
	v_wmma_f32_16x16x16_f16 v[9:16], v[49:52], v[53:56], v[9:16]
	s_wait_loadcnt 0x0
	v_wmma_f32_16x16x16_f16 v[0:7], v[49:52], v[125:128], v[0:7]
	scratch_load_b128 v[49:52], off, off offset:1200 th:TH_LOAD_LU ; 16-byte Folded Reload
	s_wait_loadcnt 0x0
	v_wmma_f32_16x16x16_f16 v[145:152], v[49:52], v[97:100], v[145:152]
	v_wmma_f32_16x16x16_f16 v[209:216], v[49:52], v[53:56], v[209:216]
	;; [unrolled: 1-line block ×4, first 2 shown]
	scratch_load_b128 v[49:52], off, off offset:1216 th:TH_LOAD_LU ; 16-byte Folded Reload
	s_clause 0x1
	scratch_store_b128 off, v[145:148], off offset:880
	scratch_store_b128 off, v[149:152], off offset:896
	v_dual_mov_b32 v145, v209 :: v_dual_mov_b32 v146, v210
	v_dual_mov_b32 v147, v211 :: v_dual_mov_b32 v148, v212
	;; [unrolled: 1-line block ×8, first 2 shown]
	s_wait_loadcnt 0x0
	v_wmma_f32_16x16x16_f16 v[41:48], v[49:52], v[125:128], v[41:48]
	v_wmma_f32_16x16x16_f16 v[229:236], v[49:52], v[97:100], v[229:236]
	;; [unrolled: 1-line block ×4, first 2 shown]
	s_clause 0x1
	scratch_store_b128 off, v[41:44], off offset:656
	scratch_store_b128 off, v[45:48], off offset:672
	s_clause 0x2
	scratch_load_b128 v[45:48], off, off offset:560
	scratch_load_b128 v[41:44], off, off offset:1088 th:TH_LOAD_LU
	scratch_load_b128 v[49:52], off, off offset:576
	s_wait_loadcnt 0x1
	v_wmma_f32_16x16x16_f16 v[109:116], v[41:44], v[97:100], v[109:116]
	s_wait_loadcnt 0x0
	v_wmma_f32_16x16x16_f16 v[45:52], v[41:44], v[53:56], v[45:52]
	v_wmma_f32_16x16x16_f16 v[81:88], v[41:44], v[60:63], v[81:88]
	;; [unrolled: 1-line block ×3, first 2 shown]
	s_clause 0x2
	scratch_store_b128 off, v[109:112], off offset:528
	scratch_store_b128 off, v[45:48], off offset:560
	;; [unrolled: 1-line block ×3, first 2 shown]
	s_clause 0x2
	scratch_load_b128 v[41:44], off, off offset:32 th:TH_LOAD_LU
	scratch_load_b128 v[49:52], off, off offset:1104 th:TH_LOAD_LU
	;; [unrolled: 1-line block ×3, first 2 shown]
	s_clause 0x1
	scratch_store_b128 off, v[81:84], off offset:592
	scratch_store_b128 off, v[85:88], off offset:608
	v_mov_b32_e32 v81, v89
	scratch_store_b128 off, v[113:116], off offset:544 ; 16-byte Folded Spill
	v_dual_mov_b32 v82, v90 :: v_dual_mov_b32 v83, v91
	v_dual_mov_b32 v84, v92 :: v_dual_mov_b32 v85, v93
	;; [unrolled: 1-line block ×3, first 2 shown]
	v_mov_b32_e32 v88, v96
	s_wait_loadcnt 0x1
	v_wmma_f32_16x16x16_f16 v[161:168], v[49:52], v[97:100], v[161:168]
	v_wmma_f32_16x16x16_f16 v[117:124], v[49:52], v[53:56], v[117:124]
	s_wait_loadcnt 0x0
	v_wmma_f32_16x16x16_f16 v[41:48], v[49:52], v[60:63], v[41:48]
	v_wmma_f32_16x16x16_f16 v[245:252], v[49:52], v[125:128], v[245:252]
	scratch_load_b128 v[49:52], off, off offset:1056 th:TH_LOAD_LU ; 16-byte Folded Reload
	s_wait_loadcnt 0x0
	v_wmma_f32_16x16x16_f16 v[65:72], v[49:52], v[97:100], v[65:72]
	v_wmma_f32_16x16x16_f16 v[201:208], v[49:52], v[53:56], v[201:208]
	;; [unrolled: 1-line block ×4, first 2 shown]
	scratch_load_b128 v[49:52], off, off offset:1072 th:TH_LOAD_LU ; 16-byte Folded Reload
	s_clause 0x1
	scratch_store_b128 off, v[65:68], off offset:192
	scratch_store_b128 off, v[69:72], off offset:208
	s_wait_loadcnt 0x0
	v_wmma_f32_16x16x16_f16 v[185:192], v[49:52], v[97:100], v[185:192]
	v_wmma_f32_16x16x16_f16 v[17:24], v[49:52], v[60:63], v[17:24]
	;; [unrolled: 1-line block ×4, first 2 shown]
	s_clause 0x1
	scratch_store_b128 off, v[185:188], off offset:64
	scratch_store_b128 off, v[189:192], off offset:80
	v_dual_mov_b32 v192, v24 :: v_dual_mov_b32 v191, v23
	v_dual_mov_b32 v190, v22 :: v_dual_mov_b32 v189, v21
	;; [unrolled: 1-line block ×4, first 2 shown]
	scratch_load_b128 v[17:20], off, off offset:1024 th:TH_LOAD_LU ; 16-byte Folded Reload
	s_clause 0x1
	scratch_store_b128 off, v[193:196], off offset:848
	scratch_store_b128 off, v[197:200], off offset:864
	s_wait_loadcnt 0x0
	v_wmma_f32_16x16x16_f16 v[169:176], v[17:20], v[53:56], v[169:176]
	v_wmma_f32_16x16x16_f16 v[73:80], v[17:20], v[97:100], v[73:80]
	;; [unrolled: 1-line block ×4, first 2 shown]
	; sched_group_barrier mask(0x00000008) size(64) SyncID(0)
	s_delay_alu instid0(VALU_DEP_3)
	v_dual_mov_b32 v200, v176 :: v_dual_mov_b32 v65, v73
	v_dual_mov_b32 v199, v175 :: v_dual_mov_b32 v198, v174
	;; [unrolled: 1-line block ×12, first 2 shown]
	; sched_barrier mask(0x00000000)
	s_clause 0x1
	scratch_load_b128 v[17:20], off, off offset:384 th:TH_LOAD_LU
	scratch_load_b128 v[21:24], off, off offset:400 th:TH_LOAD_LU
	v_dual_mov_b32 v104, v48 :: v_dual_mov_b32 v103, v47
	v_dual_mov_b32 v102, v46 :: v_dual_mov_b32 v101, v45
	;; [unrolled: 1-line block ×12, first 2 shown]
	v_cvt_f16_f32_e32 v78, v25
	v_cvt_f16_f32_e32 v25, v81
	scratch_load_b32 v81, off, off offset:1496 th:TH_LOAD_LU ; 4-byte Folded Reload
	v_cvt_f16_f32_e64 v227, v5
	v_cvt_f16_f32_e64 v228, v6
	v_dual_mov_b32 v57, v193 :: v_dual_mov_b32 v58, v194
	v_dual_mov_b32 v59, v195 :: v_dual_mov_b32 v60, v196
	;; [unrolled: 1-line block ×4, first 2 shown]
	s_clause 0x1
	scratch_load_b32 v193, off, off offset:1512 th:TH_LOAD_LU
	scratch_load_b32 v194, off, off offset:1508 th:TH_LOAD_LU
	v_cvt_f16_f32_e32 v79, v32
	v_cvt_f16_f32_e64 v89, v129
	v_cvt_f16_f32_e64 v90, v130
	;; [unrolled: 1-line block ×8, first 2 shown]
	s_clause 0x1
	scratch_load_b128 v[129:132], off, off offset:192 th:TH_LOAD_LU
	scratch_load_b128 v[133:136], off, off offset:208 th:TH_LOAD_LU
	s_add_co_i32 s2, s5, s3
	s_and_b32 s1, s1, 0xffff
	s_lshl_b32 s2, s2, 1
	s_mov_b32 s3, 0x31004000
	v_cvt_f16_f32_e64 v243, v209
	v_cvt_f16_f32_e64 v244, v210
	;; [unrolled: 1-line block ×7, first 2 shown]
	v_cvt_f16_f32_e32 v50, v26
	v_cvt_f16_f32_e32 v51, v27
	;; [unrolled: 1-line block ×6, first 2 shown]
	v_cvt_f16_f32_e64 v162, v88
	v_cvt_f16_f32_e32 v121, v113
	v_cvt_f16_f32_e32 v122, v114
	;; [unrolled: 1-line block ×7, first 2 shown]
	v_cvt_f16_f32_e64 v128, v120
	v_cvt_f16_f32_e32 v113, v105
	v_cvt_f16_f32_e32 v114, v106
	;; [unrolled: 1-line block ×16, first 2 shown]
	v_cvt_f16_f32_e64 v97, v245
	v_cvt_f16_f32_e64 v98, v246
	;; [unrolled: 1-line block ×14, first 2 shown]
	s_wait_loadcnt 0x6
	v_cvt_f16_f32_e32 v8, v17
	s_wait_loadcnt 0x5
	v_cvt_f16_f32_e32 v45, v21
	v_cvt_f16_f32_e32 v46, v22
	;; [unrolled: 1-line block ×4, first 2 shown]
	scratch_store_b32 off, v8, off offset:1344 ; 4-byte Folded Spill
	v_cvt_f16_f32_e32 v8, v18
	scratch_store_b32 off, v8, off offset:1360 ; 4-byte Folded Spill
	v_cvt_f16_f32_e32 v8, v19
	;; [unrolled: 2-line block ×3, first 2 shown]
	s_clause 0x1
	scratch_load_b128 v[17:20], off, off offset:480 th:TH_LOAD_LU
	scratch_load_b128 v[21:24], off, off offset:496 th:TH_LOAD_LU
	scratch_store_b32 off, v8, off offset:1392 ; 4-byte Folded Spill
	v_cvt_f16_f32_e32 v8, v9
	scratch_store_b32 off, v8, off          ; 4-byte Folded Spill
	v_cvt_f16_f32_e32 v8, v10
	scratch_store_b32 off, v8, off offset:32 ; 4-byte Folded Spill
	v_cvt_f16_f32_e32 v8, v11
	s_wait_loadcnt 0x4
	v_lshlrev_b32_e32 v194, 1, v194
	scratch_store_b32 off, v8, off offset:96 ; 4-byte Folded Spill
	v_cvt_f16_f32_e32 v8, v12
	scratch_store_b32 off, v8, off offset:128 ; 4-byte Folded Spill
	v_cvt_f16_f32_e32 v8, v13
	;; [unrolled: 2-line block ×5, first 2 shown]
	scratch_store_b32 off, v8, off offset:288 ; 4-byte Folded Spill
	s_wait_loadcnt 0x1
	v_cvt_f16_f32_e32 v8, v17
	scratch_store_b32 off, v8, off offset:320 ; 4-byte Folded Spill
	v_cvt_f16_f32_e32 v8, v18
	scratch_store_b32 off, v8, off offset:352 ; 4-byte Folded Spill
	;; [unrolled: 2-line block ×4, first 2 shown]
	s_wait_loadcnt 0x0
	v_cvt_f16_f32_e32 v8, v21
	scratch_store_b32 off, v8, off offset:448 ; 4-byte Folded Spill
	v_cvt_f16_f32_e32 v8, v22
	scratch_store_b32 off, v8, off offset:512 ; 4-byte Folded Spill
	;; [unrolled: 2-line block ×3, first 2 shown]
	v_cvt_f16_f32_e32 v8, v24
	v_dual_mov_b32 v17, v33 :: v_dual_mov_b32 v18, v34
	v_dual_mov_b32 v19, v35 :: v_dual_mov_b32 v20, v36
	scratch_store_b32 off, v8, off offset:480 ; 4-byte Folded Spill
	v_cvt_f16_f32_e32 v8, v0
	v_dual_mov_b32 v21, v37 :: v_dual_mov_b32 v22, v38
	v_dual_mov_b32 v23, v39 :: v_dual_mov_b32 v24, v40
	scratch_store_b32 off, v8, off offset:688 ; 4-byte Folded Spill
	v_cvt_f16_f32_e32 v8, v1
	v_cvt_f16_f32_e64 v237, v19
	v_cvt_f16_f32_e64 v238, v20
	;; [unrolled: 1-line block ×4, first 2 shown]
	scratch_store_b32 off, v8, off offset:720 ; 4-byte Folded Spill
	v_cvt_f16_f32_e32 v8, v2
	v_cvt_f16_f32_e64 v241, v23
	v_cvt_f16_f32_e64 v242, v24
	v_cvt_f16_f32_e32 v0, v7
	v_cvt_f16_f32_e32 v40, v84
	scratch_store_b32 off, v8, off offset:752 ; 4-byte Folded Spill
	v_cvt_f16_f32_e32 v8, v3
	v_cvt_f16_f32_e64 v84, v180
	s_clause 0x1
	scratch_store_b32 off, v0, off offset:1440
	scratch_store_b32 off, v8, off offset:1408
	v_cvt_f16_f32_e32 v8, v4
	v_dual_mov_b32 v0, v201 :: v_dual_mov_b32 v1, v202
	v_dual_mov_b32 v2, v203 :: v_dual_mov_b32 v3, v204
	scratch_store_b32 off, v8, off offset:1424 ; 4-byte Folded Spill
	v_cvt_f16_f32_e32 v8, v17
	v_dual_mov_b32 v4, v205 :: v_dual_mov_b32 v5, v206
	v_dual_mov_b32 v6, v207 :: v_dual_mov_b32 v7, v208
	scratch_store_b32 off, v8, off offset:784 ; 4-byte Folded Spill
	v_cvt_f16_f32_e32 v8, v18
	s_clause 0x1
	scratch_load_b128 v[17:20], off, off offset:880 th:TH_LOAD_LU
	scratch_load_b128 v[21:24], off, off offset:896 th:TH_LOAD_LU
	v_cvt_f16_f32_e64 v253, v0
	v_cvt_f16_f32_e64 v254, v1
	scratch_store_b32 off, v8, off offset:816 ; 4-byte Folded Spill
	v_cvt_f16_f32_e64 v8, v211
	v_cvt_f16_f32_e64 v255, v2
	v_cvt_f16_f32_e32 v9, v3
	v_cvt_f16_f32_e32 v10, v4
	;; [unrolled: 1-line block ×3, first 2 shown]
	scratch_store_b32 off, v8, off offset:912 ; 4-byte Folded Spill
	v_cvt_f16_f32_e64 v8, v212
	v_lshrrev_b32_e32 v211, 3, v81
	scratch_load_b32 v81, off, off offset:1504 th:TH_LOAD_LU ; 4-byte Folded Reload
	scratch_store_b32 off, v8, off offset:944 ; 4-byte Folded Spill
	v_cvt_f16_f32_e64 v8, v213
	v_and_or_b32 v193, v211, 16, v193
	scratch_store_b32 off, v8, off offset:976 ; 4-byte Folded Spill
	v_cvt_f16_f32_e64 v8, v214
	v_lshlrev_b32_e32 v193, 7, v193
	scratch_store_b32 off, v8, off offset:1008 ; 4-byte Folded Spill
	v_cvt_f16_f32_e64 v8, v215
	scratch_store_b32 off, v8, off offset:1024 ; 4-byte Folded Spill
	v_cvt_f16_f32_e64 v8, v216
	;; [unrolled: 2-line block ×5, first 2 shown]
	v_cvt_f16_f32_e64 v147, v85
	v_cvt_f16_f32_e64 v85, v181
	scratch_store_b32 off, v8, off offset:1088 ; 4-byte Folded Spill
	v_cvt_f16_f32_e64 v8, v148
	v_cvt_f16_f32_e64 v148, v234
	scratch_store_b32 off, v8, off offset:1104 ; 4-byte Folded Spill
	;; [unrolled: 3-line block ×3, first 2 shown]
	v_cvt_f16_f32_e64 v8, v150
	scratch_store_b32 off, v8, off offset:1136 ; 4-byte Folded Spill
	v_cvt_f16_f32_e64 v8, v151
	scratch_store_b32 off, v8, off offset:1152 ; 4-byte Folded Spill
	;; [unrolled: 2-line block ×3, first 2 shown]
	s_wait_loadcnt 0x2
	v_cvt_f16_f32_e32 v8, v17
	scratch_store_b32 off, v8, off offset:1184 ; 4-byte Folded Spill
	v_cvt_f16_f32_e32 v8, v18
	scratch_store_b32 off, v8, off offset:1200 ; 4-byte Folded Spill
	v_cvt_f16_f32_e32 v8, v19
	s_wait_loadcnt 0x0
	v_and_b32_e32 v81, 48, v81
	scratch_store_b32 off, v8, off offset:1216 ; 4-byte Folded Spill
	v_cvt_f16_f32_e32 v8, v20
	v_lshlrev_b32_e32 v81, 1, v81
	scratch_store_b32 off, v8, off offset:1232 ; 4-byte Folded Spill
	v_cvt_f16_f32_e32 v8, v21
	v_or3_b32 v81, v81, v193, v194
	scratch_load_b32 v193, off, off offset:1500 th:TH_LOAD_LU ; 4-byte Folded Reload
	v_lshl_or_b32 v194, s4, 8, v211
	s_lshl_b32 s4, s25, 5
	scratch_store_b32 off, v8, off offset:1236 ; 4-byte Folded Spill
	v_cvt_f16_f32_e32 v8, v22
	scratch_store_b32 off, v8, off offset:1240 ; 4-byte Folded Spill
	v_cvt_f16_f32_e32 v8, v23
	;; [unrolled: 2-line block ×3, first 2 shown]
	s_clause 0x1
	scratch_load_b128 v[17:20], off, off offset:656 th:TH_LOAD_LU
	scratch_load_b128 v[21:24], off, off offset:672 th:TH_LOAD_LU
	scratch_store_b32 off, v8, off offset:880 ; 4-byte Folded Spill
	v_cvt_f16_f32_e64 v8, v229
	v_cvt_f16_f32_e64 v229, v28
	scratch_store_b32 off, v8, off offset:1248 ; 4-byte Folded Spill
	v_cvt_f16_f32_e64 v8, v230
	v_cvt_f16_f32_e64 v230, v29
	;; [unrolled: 3-line block ×4, first 2 shown]
	s_clause 0x1
	scratch_load_b128 v[28:31], off, off offset:528 th:TH_LOAD_LU
	scratch_load_b128 v[32:35], off, off offset:544 th:TH_LOAD_LU
	scratch_store_b32 off, v8, off offset:1260 ; 4-byte Folded Spill
	v_cvt_f16_f32_e64 v8, v233
	scratch_store_b32 off, v8, off offset:1264 ; 4-byte Folded Spill
	v_cvt_f16_f32_e64 v8, v217
	;; [unrolled: 2-line block ×5, first 2 shown]
	scratch_store_b32 off, v8, off offset:1328 ; 4-byte Folded Spill
	s_wait_loadcnt 0x4
	v_and_b32_e32 v212, 56, v193
	s_delay_alu instid0(VALU_DEP_1) | instskip(NEXT) | instid1(VALU_DEP_1)
	v_lshl_or_b32 v193, s26, 8, v212
	v_mad_co_u64_u32 v[193:194], null, v194, s25, v[193:194]
	s_wait_loadcnt 0x3
	v_cvt_f16_f32_e32 v80, v17
	v_cvt_f16_f32_e64 v145, v18
	v_cvt_f16_f32_e32 v37, v19
	v_cvt_f16_f32_e64 v146, v20
	s_wait_loadcnt 0x2
	v_cvt_f16_f32_e32 v49, v21
	v_cvt_f16_f32_e32 v8, v22
	;; [unrolled: 1-line block ×4, first 2 shown]
	s_clause 0x1
	scratch_load_b128 v[17:20], off, off offset:592 th:TH_LOAD_LU
	scratch_load_b128 v[21:24], off, off offset:608 th:TH_LOAD_LU
	s_wait_loadcnt 0x3
	v_cvt_f16_f32_e32 v41, v28
	v_cvt_f16_f32_e32 v42, v29
	;; [unrolled: 1-line block ×4, first 2 shown]
	s_wait_loadcnt 0x2
	v_cvt_f16_f32_e64 v225, v32
	v_cvt_f16_f32_e64 v226, v33
	v_cvt_f16_f32_e32 v28, v35
	s_wait_loadcnt 0x1
	v_cvt_f16_f32_e64 v163, v17
	v_cvt_f16_f32_e64 v164, v18
	;; [unrolled: 1-line block ×3, first 2 shown]
	s_clause 0x1
	scratch_load_b128 v[12:15], off, off offset:560 th:TH_LOAD_LU
	scratch_load_b128 v[16:19], off, off offset:576 th:TH_LOAD_LU
	v_cvt_f16_f32_e32 v75, v20
	s_wait_loadcnt 0x2
	v_cvt_f16_f32_e32 v21, v21
	v_cvt_f16_f32_e32 v22, v22
	;; [unrolled: 1-line block ×5, first 2 shown]
	v_dual_mov_b32 v29, v185 :: v_dual_mov_b32 v30, v186
	v_dual_mov_b32 v31, v187 :: v_dual_mov_b32 v32, v188
	;; [unrolled: 1-line block ×4, first 2 shown]
	v_cvt_f16_f32_e64 v185, v129
	v_cvt_f16_f32_e64 v186, v130
	;; [unrolled: 1-line block ×8, first 2 shown]
	s_wait_loadcnt 0x1
	v_cvt_f16_f32_e32 v73, v12
	v_cvt_f16_f32_e32 v74, v13
	;; [unrolled: 1-line block ×4, first 2 shown]
	s_clause 0x1
	scratch_load_b128 v[0:3], off, off offset:64 th:TH_LOAD_LU
	scratch_load_b128 v[4:7], off, off offset:80 th:TH_LOAD_LU
	v_cvt_f16_f32_e32 v14, v14
	v_cvt_f16_f32_e32 v15, v15
	s_wait_loadcnt 0x2
	v_cvt_f16_f32_e32 v16, v16
	v_cvt_f16_f32_e32 v17, v17
	;; [unrolled: 1-line block ×4, first 2 shown]
	s_wait_loadcnt 0x1
	v_cvt_f16_f32_e64 v195, v0
	v_cvt_f16_f32_e64 v196, v1
	v_cvt_f16_f32_e64 v197, v2
	v_cvt_f16_f32_e64 v198, v3
	s_wait_loadcnt 0x0
	v_cvt_f16_f32_e64 v199, v4
	v_cvt_f16_f32_e64 v200, v5
	;; [unrolled: 1-line block ×4, first 2 shown]
	s_clause 0x1
	scratch_load_b128 v[0:3], off, off offset:848 th:TH_LOAD_LU
	scratch_load_b128 v[4:7], off, off offset:864 th:TH_LOAD_LU
	s_wait_dscnt 0x0
	s_barrier_signal -1
	s_barrier_wait -1
	ds_store_b16 v81, v45 offset:512
	ds_store_b16 v81, v46 offset:640
	ds_store_b16 v81, v47 offset:768
	ds_store_b16 v81, v48 offset:896
	s_wait_loadcnt 0x1
	v_cvt_f16_f32_e64 v203, v0
	scratch_load_b32 v0, off, off offset:1344 th:TH_LOAD_LU ; 4-byte Folded Reload
	v_cvt_f16_f32_e64 v204, v1
	v_cvt_f16_f32_e64 v205, v2
	;; [unrolled: 1-line block ×3, first 2 shown]
	s_wait_loadcnt 0x1
	v_cvt_f16_f32_e64 v207, v4
	v_cvt_f16_f32_e64 v208, v5
	v_lshlrev_b32_e32 v5, 1, v193
	v_cvt_f16_f32_e64 v209, v6
	v_add_nc_u32_e32 v6, 0xc0, v193
	v_cvt_f16_f32_e64 v210, v7
	s_delay_alu instid0(VALU_DEP_2)
	v_lshlrev_b32_e32 v7, 1, v6
	s_wait_loadcnt 0x0
	ds_store_b16 v81, v0
	scratch_load_b32 v0, off, off offset:1360 th:TH_LOAD_LU ; 4-byte Folded Reload
	s_wait_loadcnt 0x0
	ds_store_b16 v81, v0 offset:128
	scratch_load_b32 v0, off, off offset:1376 th:TH_LOAD_LU ; 4-byte Folded Reload
	s_wait_loadcnt 0x0
	ds_store_b16 v81, v0 offset:256
	;; [unrolled: 3-line block ×3, first 2 shown]
	v_lshlrev_b32_e32 v0, 1, v212
	s_wait_dscnt 0x0
	s_barrier_signal -1
	s_barrier_wait -1
	s_delay_alu instid0(VALU_DEP_1)
	v_lshl_or_b32 v0, v211, 7, v0
	ds_load_b128 v[1:4], v0
	s_wait_dscnt 0x0
	buffer_store_b128 v[1:4], v5, s[0:3], null offen
	s_wait_dscnt 0x0
	s_barrier_signal -1
	s_barrier_wait -1
	scratch_load_b32 v1, off, off th:TH_LOAD_LU ; 4-byte Folded Reload
	s_wait_loadcnt 0x0
	ds_store_b16 v81, v1
	scratch_load_b32 v1, off, off offset:32 th:TH_LOAD_LU ; 4-byte Folded Reload
	s_wait_loadcnt 0x0
	ds_store_b16 v81, v1 offset:128
	scratch_load_b32 v1, off, off offset:96 th:TH_LOAD_LU ; 4-byte Folded Reload
	s_wait_loadcnt 0x0
	ds_store_b16 v81, v1 offset:256
	;; [unrolled: 3-line block ×7, first 2 shown]
	s_wait_dscnt 0x0
	s_barrier_signal -1
	s_barrier_wait -1
	ds_load_b128 v[1:4], v0
	s_wait_dscnt 0x0
	buffer_store_b128 v[1:4], v5, s[0:3], null offen offset:128
	s_wait_dscnt 0x0
	s_barrier_signal -1
	s_barrier_wait -1
	scratch_load_b32 v1, off, off offset:320 th:TH_LOAD_LU ; 4-byte Folded Reload
	s_wait_loadcnt 0x0
	ds_store_b16 v81, v1
	scratch_load_b32 v1, off, off offset:352 th:TH_LOAD_LU ; 4-byte Folded Reload
	s_wait_loadcnt 0x0
	ds_store_b16 v81, v1 offset:128
	scratch_load_b32 v1, off, off offset:384 th:TH_LOAD_LU ; 4-byte Folded Reload
	s_wait_loadcnt 0x0
	ds_store_b16 v81, v1 offset:256
	scratch_load_b32 v1, off, off offset:416 th:TH_LOAD_LU ; 4-byte Folded Reload
	s_wait_loadcnt 0x0
	ds_store_b16 v81, v1 offset:384
	scratch_load_b32 v1, off, off offset:448 th:TH_LOAD_LU ; 4-byte Folded Reload
	s_wait_loadcnt 0x0
	ds_store_b16 v81, v1 offset:512
	scratch_load_b32 v1, off, off offset:512 th:TH_LOAD_LU ; 4-byte Folded Reload
	s_wait_loadcnt 0x0
	ds_store_b16 v81, v1 offset:640
	scratch_load_b32 v1, off, off offset:624 th:TH_LOAD_LU ; 4-byte Folded Reload
	s_wait_loadcnt 0x0
	ds_store_b16 v81, v1 offset:768
	scratch_load_b32 v1, off, off offset:480 th:TH_LOAD_LU ; 4-byte Folded Reload
	s_wait_loadcnt 0x0
	ds_store_b16 v81, v1 offset:896
	s_wait_dscnt 0x0
	s_barrier_signal -1
	s_barrier_wait -1
	ds_load_b128 v[1:4], v0
	s_wait_dscnt 0x0
	buffer_store_b128 v[1:4], v5, s[0:3], null offen offset:256
	s_wait_dscnt 0x0
	s_barrier_signal -1
	s_barrier_wait -1
	scratch_load_b32 v1, off, off offset:688 th:TH_LOAD_LU ; 4-byte Folded Reload
	ds_store_b16 v81, v227 offset:640
	ds_store_b16 v81, v228 offset:768
	s_wait_loadcnt 0x0
	ds_store_b16 v81, v1
	scratch_load_b32 v1, off, off offset:720 th:TH_LOAD_LU ; 4-byte Folded Reload
	s_wait_loadcnt 0x0
	ds_store_b16 v81, v1 offset:128
	scratch_load_b32 v1, off, off offset:752 th:TH_LOAD_LU ; 4-byte Folded Reload
	s_wait_loadcnt 0x0
	ds_store_b16 v81, v1 offset:256
	;; [unrolled: 3-line block ×5, first 2 shown]
	s_wait_dscnt 0x0
	s_barrier_signal -1
	s_barrier_wait -1
	ds_load_b128 v[1:4], v0
	s_wait_dscnt 0x0
	s_clause 0x1
	buffer_store_b64 v[1:2], v7, s[0:3], null offen
	buffer_store_b64 v[3:4], v5, s[0:3], null offen offset:392
	s_wait_dscnt 0x0
	s_barrier_signal -1
	s_barrier_wait -1
	scratch_load_b32 v1, off, off offset:784 th:TH_LOAD_LU ; 4-byte Folded Reload
	ds_store_b16 v81, v237 offset:256
	ds_store_b16 v81, v238 offset:384
	;; [unrolled: 1-line block ×6, first 2 shown]
	v_add_lshl_u32 v5, v6, s4, 1
	s_delay_alu instid0(VALU_DEP_1)
	v_add_nc_u32_e32 v6, 0xffffff80, v5
	s_wait_loadcnt 0x0
	ds_store_b16 v81, v1
	scratch_load_b32 v1, off, off offset:816 th:TH_LOAD_LU ; 4-byte Folded Reload
	s_wait_loadcnt 0x0
	ds_store_b16 v81, v1 offset:128
	s_wait_dscnt 0x0
	s_barrier_signal -1
	s_barrier_wait -1
	ds_load_b128 v[1:4], v0
	s_wait_dscnt 0x0
	buffer_store_b128 v[1:4], v5, s[0:3], null offen
	s_wait_dscnt 0x0
	s_barrier_signal -1
	s_barrier_wait -1
	scratch_load_b32 v1, off, off offset:912 th:TH_LOAD_LU ; 4-byte Folded Reload
	ds_store_b16 v81, v243
	ds_store_b16 v81, v244 offset:128
	s_wait_loadcnt 0x0
	ds_store_b16 v81, v1 offset:256
	scratch_load_b32 v1, off, off offset:944 th:TH_LOAD_LU ; 4-byte Folded Reload
	s_wait_loadcnt 0x0
	ds_store_b16 v81, v1 offset:384
	scratch_load_b32 v1, off, off offset:976 th:TH_LOAD_LU ; 4-byte Folded Reload
	s_wait_loadcnt 0x0
	ds_store_b16 v81, v1 offset:512
	scratch_load_b32 v1, off, off offset:1008 th:TH_LOAD_LU ; 4-byte Folded Reload
	s_wait_loadcnt 0x0
	ds_store_b16 v81, v1 offset:640
	scratch_load_b32 v1, off, off offset:1024 th:TH_LOAD_LU ; 4-byte Folded Reload
	s_wait_loadcnt 0x0
	ds_store_b16 v81, v1 offset:768
	scratch_load_b32 v1, off, off offset:1040 th:TH_LOAD_LU ; 4-byte Folded Reload
	s_wait_loadcnt 0x0
	ds_store_b16 v81, v1 offset:896
	s_wait_dscnt 0x0
	s_barrier_signal -1
	s_barrier_wait -1
	ds_load_b128 v[1:4], v0
	s_wait_dscnt 0x0
	buffer_store_b64 v[1:2], v6, s[0:3], null offen
	v_add_nc_u32_e32 v1, 0xffffff88, v5
	v_add_nc_u32_e32 v6, 0xffffff00, v5
	buffer_store_b64 v[3:4], v1, s[0:3], null offen
	s_wait_dscnt 0x0
	s_barrier_signal -1
	s_barrier_wait -1
	scratch_load_b32 v1, off, off offset:1056 th:TH_LOAD_LU ; 4-byte Folded Reload
	s_wait_loadcnt 0x0
	ds_store_b16 v81, v1
	scratch_load_b32 v1, off, off offset:1072 th:TH_LOAD_LU ; 4-byte Folded Reload
	s_wait_loadcnt 0x0
	ds_store_b16 v81, v1 offset:128
	scratch_load_b32 v1, off, off offset:1088 th:TH_LOAD_LU ; 4-byte Folded Reload
	s_wait_loadcnt 0x0
	ds_store_b16 v81, v1 offset:256
	;; [unrolled: 3-line block ×7, first 2 shown]
	s_wait_dscnt 0x0
	s_barrier_signal -1
	s_barrier_wait -1
	ds_load_b128 v[1:4], v0
	s_wait_dscnt 0x0
	buffer_store_b64 v[1:2], v6, s[0:3], null offen
	v_add_nc_u32_e32 v1, 0xffffff08, v5
	v_add_nc_u32_e32 v5, s4, v193
	buffer_store_b64 v[3:4], v1, s[0:3], null offen
	s_wait_dscnt 0x0
	s_barrier_signal -1
	s_barrier_wait -1
	scratch_load_b32 v1, off, off offset:1184 th:TH_LOAD_LU ; 4-byte Folded Reload
	v_lshlrev_b32_e32 v6, 1, v5
	v_add_nc_u32_e32 v5, s4, v5
	s_delay_alu instid0(VALU_DEP_1)
	v_add_nc_u32_e32 v7, 0xc0, v5
	s_wait_loadcnt 0x0
	ds_store_b16 v81, v1
	scratch_load_b32 v1, off, off offset:1200 th:TH_LOAD_LU ; 4-byte Folded Reload
	s_wait_loadcnt 0x0
	ds_store_b16 v81, v1 offset:128
	scratch_load_b32 v1, off, off offset:1216 th:TH_LOAD_LU ; 4-byte Folded Reload
	s_wait_loadcnt 0x0
	ds_store_b16 v81, v1 offset:256
	;; [unrolled: 3-line block ×7, first 2 shown]
	s_wait_dscnt 0x0
	s_barrier_signal -1
	s_barrier_wait -1
	ds_load_b128 v[1:4], v0
	s_wait_dscnt 0x0
	buffer_store_b128 v[1:4], v6, s[0:3], null offen
	s_wait_dscnt 0x0
	s_barrier_signal -1
	s_barrier_wait -1
	scratch_load_b32 v1, off, off offset:1248 th:TH_LOAD_LU ; 4-byte Folded Reload
	ds_store_b16 v81, v148 offset:640
	ds_store_b16 v81, v149 offset:768
	;; [unrolled: 1-line block ×3, first 2 shown]
	v_lshlrev_b32_e32 v6, 1, v5
	v_add_nc_u32_e32 v5, s4, v5
	s_wait_loadcnt 0x0
	ds_store_b16 v81, v1
	scratch_load_b32 v1, off, off offset:1252 th:TH_LOAD_LU ; 4-byte Folded Reload
	s_wait_loadcnt 0x0
	ds_store_b16 v81, v1 offset:128
	scratch_load_b32 v1, off, off offset:1256 th:TH_LOAD_LU ; 4-byte Folded Reload
	s_wait_loadcnt 0x0
	ds_store_b16 v81, v1 offset:256
	;; [unrolled: 3-line block ×4, first 2 shown]
	s_wait_dscnt 0x0
	s_barrier_signal -1
	s_barrier_wait -1
	ds_load_b128 v[1:4], v0
	s_wait_dscnt 0x0
	buffer_store_b128 v[1:4], v6, s[0:3], null offen
	s_wait_dscnt 0x0
	s_barrier_signal -1
	s_barrier_wait -1
	scratch_load_b32 v1, off, off offset:1280 th:TH_LOAD_LU ; 4-byte Folded Reload
	ds_store_b16 v81, v53 offset:512
	ds_store_b16 v81, v54 offset:640
	;; [unrolled: 1-line block ×4, first 2 shown]
	s_wait_loadcnt 0x0
	ds_store_b16 v81, v1
	scratch_load_b32 v1, off, off offset:1296 th:TH_LOAD_LU ; 4-byte Folded Reload
	s_wait_loadcnt 0x0
	ds_store_b16 v81, v1 offset:128
	scratch_load_b32 v1, off, off offset:1312 th:TH_LOAD_LU ; 4-byte Folded Reload
	s_wait_loadcnt 0x0
	ds_store_b16 v81, v1 offset:256
	;; [unrolled: 3-line block ×3, first 2 shown]
	s_wait_dscnt 0x0
	s_barrier_signal -1
	s_barrier_wait -1
	ds_load_b128 v[1:4], v0
	s_wait_dscnt 0x0
	buffer_store_b128 v[1:4], v6, s[0:3], null offen offset:128
	s_wait_dscnt 0x0
	s_barrier_signal -1
	s_barrier_wait -1
	ds_store_b16 v81, v78
	ds_store_b16 v81, v50 offset:128
	ds_store_b16 v81, v51 offset:256
	;; [unrolled: 1-line block ×7, first 2 shown]
	s_wait_dscnt 0x0
	s_barrier_signal -1
	s_barrier_wait -1
	ds_load_b128 v[1:4], v0
	s_wait_dscnt 0x0
	buffer_store_b128 v[1:4], v6, s[0:3], null offen offset:256
	s_wait_dscnt 0x0
	s_barrier_signal -1
	s_barrier_wait -1
	ds_store_b16 v81, v80
	ds_store_b16 v81, v145 offset:128
	ds_store_b16 v81, v37 offset:256
	;; [unrolled: 1-line block ×7, first 2 shown]
	s_wait_dscnt 0x0
	s_barrier_signal -1
	s_barrier_wait -1
	ds_load_b128 v[1:4], v0
	v_lshlrev_b32_e32 v8, 1, v7
	s_wait_dscnt 0x0
	s_clause 0x1
	buffer_store_b64 v[1:2], v8, s[0:3], null offen
	buffer_store_b64 v[3:4], v6, s[0:3], null offen offset:392
	s_wait_dscnt 0x0
	s_barrier_signal -1
	s_barrier_wait -1
	ds_store_b16 v81, v25
	ds_store_b16 v81, v26 offset:128
	ds_store_b16 v81, v27 offset:256
	;; [unrolled: 1-line block ×7, first 2 shown]
	s_wait_dscnt 0x0
	s_barrier_signal -1
	s_barrier_wait -1
	ds_load_b128 v[1:4], v0
	v_add_lshl_u32 v6, v7, s4, 1
	s_delay_alu instid0(VALU_DEP_1)
	v_add_nc_u32_e32 v7, 0xffffff80, v6
	s_wait_dscnt 0x0
	buffer_store_b128 v[1:4], v6, s[0:3], null offen
	s_wait_dscnt 0x0
	s_barrier_signal -1
	s_barrier_wait -1
	ds_store_b16 v81, v163
	ds_store_b16 v81, v164 offset:128
	ds_store_b16 v81, v165 offset:256
	;; [unrolled: 1-line block ×7, first 2 shown]
	s_wait_dscnt 0x0
	s_barrier_signal -1
	s_barrier_wait -1
	ds_load_b128 v[1:4], v0
	s_wait_dscnt 0x0
	buffer_store_b64 v[1:2], v7, s[0:3], null offen
	v_add_nc_u32_e32 v1, 0xffffff88, v6
	v_add_nc_u32_e32 v7, 0xffffff00, v6
	buffer_store_b64 v[3:4], v1, s[0:3], null offen
	s_wait_dscnt 0x0
	s_barrier_signal -1
	s_barrier_wait -1
	ds_store_b16 v81, v73
	ds_store_b16 v81, v74 offset:128
	ds_store_b16 v81, v14 offset:256
	;; [unrolled: 1-line block ×7, first 2 shown]
	s_wait_dscnt 0x0
	s_barrier_signal -1
	s_barrier_wait -1
	ds_load_b128 v[1:4], v0
	s_wait_dscnt 0x0
	buffer_store_b64 v[1:2], v7, s[0:3], null offen
	v_add_nc_u32_e32 v1, 0xffffff08, v6
	v_lshlrev_b32_e32 v6, 1, v5
	v_add_nc_u32_e32 v5, s4, v5
	buffer_store_b64 v[3:4], v1, s[0:3], null offen
	s_wait_dscnt 0x0
	s_barrier_signal -1
	s_barrier_wait -1
	ds_store_b16 v81, v41
	ds_store_b16 v81, v42 offset:128
	ds_store_b16 v81, v43 offset:256
	;; [unrolled: 1-line block ×7, first 2 shown]
	s_wait_dscnt 0x0
	s_barrier_signal -1
	s_barrier_wait -1
	ds_load_b128 v[1:4], v0
	v_add_nc_u32_e32 v7, 0xc0, v5
	s_delay_alu instid0(VALU_DEP_1)
	v_lshlrev_b32_e32 v8, 1, v7
	s_wait_dscnt 0x0
	buffer_store_b128 v[1:4], v6, s[0:3], null offen
	s_wait_dscnt 0x0
	s_barrier_signal -1
	s_barrier_wait -1
	ds_store_b16 v81, v121
	ds_store_b16 v81, v122 offset:128
	ds_store_b16 v81, v123 offset:256
	;; [unrolled: 1-line block ×7, first 2 shown]
	s_wait_dscnt 0x0
	s_barrier_signal -1
	s_barrier_wait -1
	ds_load_b128 v[1:4], v0
	v_lshlrev_b32_e32 v6, 1, v5
	v_add_nc_u32_e32 v5, s4, v5
	s_wait_dscnt 0x0
	buffer_store_b128 v[1:4], v6, s[0:3], null offen
	s_wait_dscnt 0x0
	s_barrier_signal -1
	s_barrier_wait -1
	ds_store_b16 v81, v113
	ds_store_b16 v81, v114 offset:128
	ds_store_b16 v81, v115 offset:256
	ds_store_b16 v81, v116 offset:384
	ds_store_b16 v81, v117 offset:512
	ds_store_b16 v81, v118 offset:640
	ds_store_b16 v81, v119 offset:768
	ds_store_b16 v81, v120 offset:896
	s_wait_dscnt 0x0
	s_barrier_signal -1
	s_barrier_wait -1
	ds_load_b128 v[1:4], v0
	s_wait_dscnt 0x0
	buffer_store_b128 v[1:4], v6, s[0:3], null offen offset:128
	s_wait_dscnt 0x0
	s_barrier_signal -1
	s_barrier_wait -1
	ds_store_b16 v81, v105
	ds_store_b16 v81, v106 offset:128
	ds_store_b16 v81, v107 offset:256
	;; [unrolled: 1-line block ×7, first 2 shown]
	s_wait_dscnt 0x0
	s_barrier_signal -1
	s_barrier_wait -1
	ds_load_b128 v[1:4], v0
	s_wait_dscnt 0x0
	buffer_store_b128 v[1:4], v6, s[0:3], null offen offset:256
	s_wait_dscnt 0x0
	s_barrier_signal -1
	s_barrier_wait -1
	ds_store_b16 v81, v97
	ds_store_b16 v81, v98 offset:128
	ds_store_b16 v81, v99 offset:256
	;; [unrolled: 1-line block ×7, first 2 shown]
	s_wait_dscnt 0x0
	s_barrier_signal -1
	s_barrier_wait -1
	ds_load_b128 v[1:4], v0
	s_wait_dscnt 0x0
	s_clause 0x1
	buffer_store_b64 v[1:2], v8, s[0:3], null offen
	buffer_store_b64 v[3:4], v6, s[0:3], null offen offset:392
	s_wait_dscnt 0x0
	s_barrier_signal -1
	s_barrier_wait -1
	ds_store_b16 v81, v89
	ds_store_b16 v81, v90 offset:128
	ds_store_b16 v81, v91 offset:256
	;; [unrolled: 1-line block ×7, first 2 shown]
	s_wait_dscnt 0x0
	s_barrier_signal -1
	s_barrier_wait -1
	ds_load_b128 v[1:4], v0
	v_add_lshl_u32 v6, v7, s4, 1
	v_cvt_f16_f32_e32 v8, v34
	s_delay_alu instid0(VALU_DEP_2)
	v_add_nc_u32_e32 v7, 0xffffff80, v6
	s_wait_dscnt 0x0
	buffer_store_b128 v[1:4], v6, s[0:3], null offen
	s_wait_dscnt 0x0
	s_barrier_signal -1
	s_barrier_wait -1
	ds_store_b16 v81, v161
	ds_store_b16 v81, v82 offset:128
	ds_store_b16 v81, v83 offset:256
	;; [unrolled: 1-line block ×7, first 2 shown]
	s_wait_dscnt 0x0
	s_barrier_signal -1
	s_barrier_wait -1
	ds_load_b128 v[1:4], v0
	s_wait_dscnt 0x0
	buffer_store_b64 v[1:2], v7, s[0:3], null offen
	v_add_nc_u32_e32 v1, 0xffffff88, v6
	v_add_nc_u32_e32 v7, 0xffffff00, v6
	buffer_store_b64 v[3:4], v1, s[0:3], null offen
	s_wait_dscnt 0x0
	s_barrier_signal -1
	s_barrier_wait -1
	ds_store_b16 v81, v253
	ds_store_b16 v81, v254 offset:128
	ds_store_b16 v81, v255 offset:256
	;; [unrolled: 1-line block ×7, first 2 shown]
	s_wait_dscnt 0x0
	s_barrier_signal -1
	s_barrier_wait -1
	ds_load_b128 v[1:4], v0
	v_cvt_f16_f32_e32 v9, v35
	v_cvt_f16_f32_e32 v10, v36
	s_wait_dscnt 0x0
	buffer_store_b64 v[1:2], v7, s[0:3], null offen
	v_add_nc_u32_e32 v1, 0xffffff08, v6
	v_lshlrev_b32_e32 v6, 1, v5
	v_add_nc_u32_e32 v5, s4, v5
	v_cvt_f16_f32_e32 v7, v33
	buffer_store_b64 v[3:4], v1, s[0:3], null offen
	s_wait_dscnt 0x0
	s_barrier_signal -1
	s_barrier_wait -1
	ds_store_b16 v81, v185
	ds_store_b16 v81, v186 offset:128
	ds_store_b16 v81, v187 offset:256
	;; [unrolled: 1-line block ×7, first 2 shown]
	s_wait_dscnt 0x0
	s_barrier_signal -1
	s_barrier_wait -1
	ds_load_b128 v[1:4], v0
	s_wait_dscnt 0x0
	buffer_store_b128 v[1:4], v6, s[0:3], null offen
	s_wait_dscnt 0x0
	s_barrier_signal -1
	s_barrier_wait -1
	ds_store_b16 v81, v195
	ds_store_b16 v81, v196 offset:128
	ds_store_b16 v81, v197 offset:256
	;; [unrolled: 1-line block ×7, first 2 shown]
	s_wait_dscnt 0x0
	s_barrier_signal -1
	s_barrier_wait -1
	ds_load_b128 v[1:4], v0
	v_lshlrev_b32_e32 v6, 1, v5
	s_wait_dscnt 0x0
	buffer_store_b128 v[1:4], v6, s[0:3], null offen
	s_wait_dscnt 0x0
	s_barrier_signal -1
	s_barrier_wait -1
	ds_store_b16 v81, v203
	ds_store_b16 v81, v204 offset:128
	ds_store_b16 v81, v205 offset:256
	;; [unrolled: 1-line block ×7, first 2 shown]
	s_wait_dscnt 0x0
	s_barrier_signal -1
	s_barrier_wait -1
	ds_load_b128 v[1:4], v0
	s_wait_dscnt 0x0
	buffer_store_b128 v[1:4], v6, s[0:3], null offen offset:128
	v_cvt_f16_f32_e32 v1, v29
	v_cvt_f16_f32_e32 v2, v30
	;; [unrolled: 1-line block ×4, first 2 shown]
	s_wait_dscnt 0x0
	s_barrier_signal -1
	s_barrier_wait -1
	ds_store_b16 v81, v1
	ds_store_b16 v81, v2 offset:128
	ds_store_b16 v81, v3 offset:256
	;; [unrolled: 1-line block ×7, first 2 shown]
	s_wait_dscnt 0x0
	s_barrier_signal -1
	s_barrier_wait -1
	ds_load_b128 v[1:4], v0
	v_cvt_f16_f32_e64 v7, v157
	v_cvt_f16_f32_e64 v8, v158
	;; [unrolled: 1-line block ×4, first 2 shown]
	s_wait_dscnt 0x0
	buffer_store_b128 v[1:4], v6, s[0:3], null offen offset:256
	v_cvt_f16_f32_e64 v1, v153
	v_cvt_f16_f32_e64 v2, v154
	;; [unrolled: 1-line block ×4, first 2 shown]
	s_wait_dscnt 0x0
	s_barrier_signal -1
	s_barrier_wait -1
	ds_store_b16 v81, v1
	ds_store_b16 v81, v2 offset:128
	ds_store_b16 v81, v3 offset:256
	;; [unrolled: 1-line block ×7, first 2 shown]
	s_wait_dscnt 0x0
	s_barrier_signal -1
	s_barrier_wait -1
	ds_load_b128 v[1:4], v0
	v_add_nc_u32_e32 v7, 0xc0, v5
	v_cvt_f16_f32_e64 v9, v175
	v_cvt_f16_f32_e64 v10, v176
	s_delay_alu instid0(VALU_DEP_3)
	v_lshlrev_b32_e32 v8, 1, v7
	s_wait_dscnt 0x0
	s_clause 0x1
	buffer_store_b64 v[1:2], v8, s[0:3], null offen
	buffer_store_b64 v[3:4], v6, s[0:3], null offen offset:392
	v_cvt_f16_f32_e64 v1, v169
	v_cvt_f16_f32_e64 v2, v170
	;; [unrolled: 1-line block ×6, first 2 shown]
	s_wait_dscnt 0x0
	s_barrier_signal -1
	s_barrier_wait -1
	ds_store_b16 v81, v1
	ds_store_b16 v81, v2 offset:128
	ds_store_b16 v81, v3 offset:256
	;; [unrolled: 1-line block ×7, first 2 shown]
	s_wait_dscnt 0x0
	s_barrier_signal -1
	s_barrier_wait -1
	ds_load_b128 v[1:4], v0
	v_add_lshl_u32 v6, v7, s4, 1
	v_cvt_f16_f32_e64 v7, v141
	v_cvt_f16_f32_e64 v8, v142
	;; [unrolled: 1-line block ×4, first 2 shown]
	s_wait_dscnt 0x0
	buffer_store_b128 v[1:4], v6, s[0:3], null offen
	v_cvt_f16_f32_e64 v1, v137
	v_cvt_f16_f32_e64 v2, v138
	;; [unrolled: 1-line block ×4, first 2 shown]
	s_wait_dscnt 0x0
	s_barrier_signal -1
	s_barrier_wait -1
	ds_store_b16 v81, v1
	ds_store_b16 v81, v2 offset:128
	ds_store_b16 v81, v3 offset:256
	;; [unrolled: 1-line block ×7, first 2 shown]
	s_wait_dscnt 0x0
	s_barrier_signal -1
	s_barrier_wait -1
	ds_load_b128 v[1:4], v0
	v_add_nc_u32_e32 v7, 0xffffff80, v6
	v_add_nc_u32_e32 v8, 0xffffff88, v6
	v_cvt_f16_f32_e32 v9, v63
	v_cvt_f16_f32_e32 v10, v64
	s_wait_dscnt 0x0
	s_clause 0x1
	buffer_store_b64 v[1:2], v7, s[0:3], null offen
	buffer_store_b64 v[3:4], v8, s[0:3], null offen
	v_cvt_f16_f32_e32 v1, v57
	v_cvt_f16_f32_e32 v2, v58
	;; [unrolled: 1-line block ×6, first 2 shown]
	s_wait_dscnt 0x0
	s_barrier_signal -1
	s_barrier_wait -1
	ds_store_b16 v81, v1
	ds_store_b16 v81, v2 offset:128
	ds_store_b16 v81, v3 offset:256
	;; [unrolled: 1-line block ×7, first 2 shown]
	s_wait_dscnt 0x0
	s_barrier_signal -1
	s_barrier_wait -1
	ds_load_b128 v[1:4], v0
	v_add_nc_u32_e32 v7, 0xffffff00, v6
	v_add_nc_u32_e32 v6, 0xffffff08, v6
	v_cvt_f16_f32_e32 v8, v71
	v_cvt_f16_f32_e32 v9, v72
	s_wait_dscnt 0x0
	s_clause 0x1
	buffer_store_b64 v[1:2], v7, s[0:3], null offen
	buffer_store_b64 v[3:4], v6, s[0:3], null offen
	v_cvt_f16_f32_e32 v1, v65
	v_cvt_f16_f32_e32 v2, v66
	;; [unrolled: 1-line block ×6, first 2 shown]
	s_wait_dscnt 0x0
	s_barrier_signal -1
	s_barrier_wait -1
	ds_store_b16 v81, v1
	ds_store_b16 v81, v2 offset:128
	ds_store_b16 v81, v3 offset:256
	ds_store_b16 v81, v4 offset:384
	ds_store_b16 v81, v6 offset:512
	ds_store_b16 v81, v7 offset:640
	ds_store_b16 v81, v8 offset:768
	ds_store_b16 v81, v9 offset:896
	s_wait_dscnt 0x0
	s_barrier_signal -1
	s_barrier_wait -1
	ds_load_b128 v[0:3], v0
	v_add_lshl_u32 v4, v5, s4, 1
	s_wait_dscnt 0x0
	buffer_store_b128 v[0:3], v4, s[0:3], null offen
	s_nop 0
	s_sendmsg sendmsg(MSG_DEALLOC_VGPRS)
	s_endpgm
	.section	.rodata,"a",@progbits
	.p2align	6, 0x0
	.amdhsa_kernel _ZN2ck27kernel_gemm_xdl_cshuffle_v2INS_28GridwiseGemm_xdl_cshuffle_v2INS_13tensor_layout4gemm8RowMajorES4_S4_DF16_DF16_fDF16_DF16_NS_16tensor_operation12element_wise11PassThroughES7_S7_LNS5_6device18GemmSpecializationE0ELNS_25InMemoryDataOperationEnumE0ELi2ELi256ELi256ELi256ELi32ELi8ELi4ELi16ELi16ELi8ELi4ENS_8SequenceIJLi4ELi64ELi1EEEENSB_IJLi1ELi0ELi2EEEESD_Li2ELi8ELi8ELb0ELi0ENSB_IJLi8ELi32ELi1EEEENSB_IJLi0ELi2ELi1EEEESF_Li1ELi8ELi4ELb0ELi0ELi1ELi1ENSB_IJLi1ELi32ELi1ELi8EEEELi4ELNS_13LoopSchedulerE0ELNS_15PipelineVersionE0EDF16_DF16_EELb1ELi3EEEvNT_8ArgumentE
		.amdhsa_group_segment_fixed_size 65536
		.amdhsa_private_segment_fixed_size 1520
		.amdhsa_kernarg_size 96
		.amdhsa_user_sgpr_count 2
		.amdhsa_user_sgpr_dispatch_ptr 0
		.amdhsa_user_sgpr_queue_ptr 0
		.amdhsa_user_sgpr_kernarg_segment_ptr 1
		.amdhsa_user_sgpr_dispatch_id 0
		.amdhsa_user_sgpr_private_segment_size 0
		.amdhsa_wavefront_size32 1
		.amdhsa_uses_dynamic_stack 0
		.amdhsa_enable_private_segment 1
		.amdhsa_system_sgpr_workgroup_id_x 1
		.amdhsa_system_sgpr_workgroup_id_y 0
		.amdhsa_system_sgpr_workgroup_id_z 0
		.amdhsa_system_sgpr_workgroup_info 0
		.amdhsa_system_vgpr_workitem_id 0
		.amdhsa_next_free_vgpr 256
		.amdhsa_next_free_sgpr 29
		.amdhsa_reserve_vcc 0
		.amdhsa_float_round_mode_32 0
		.amdhsa_float_round_mode_16_64 0
		.amdhsa_float_denorm_mode_32 3
		.amdhsa_float_denorm_mode_16_64 3
		.amdhsa_fp16_overflow 0
		.amdhsa_workgroup_processor_mode 1
		.amdhsa_memory_ordered 1
		.amdhsa_forward_progress 1
		.amdhsa_inst_pref_size 230
		.amdhsa_round_robin_scheduling 0
		.amdhsa_exception_fp_ieee_invalid_op 0
		.amdhsa_exception_fp_denorm_src 0
		.amdhsa_exception_fp_ieee_div_zero 0
		.amdhsa_exception_fp_ieee_overflow 0
		.amdhsa_exception_fp_ieee_underflow 0
		.amdhsa_exception_fp_ieee_inexact 0
		.amdhsa_exception_int_div_zero 0
	.end_amdhsa_kernel
	.section	.text._ZN2ck27kernel_gemm_xdl_cshuffle_v2INS_28GridwiseGemm_xdl_cshuffle_v2INS_13tensor_layout4gemm8RowMajorES4_S4_DF16_DF16_fDF16_DF16_NS_16tensor_operation12element_wise11PassThroughES7_S7_LNS5_6device18GemmSpecializationE0ELNS_25InMemoryDataOperationEnumE0ELi2ELi256ELi256ELi256ELi32ELi8ELi4ELi16ELi16ELi8ELi4ENS_8SequenceIJLi4ELi64ELi1EEEENSB_IJLi1ELi0ELi2EEEESD_Li2ELi8ELi8ELb0ELi0ENSB_IJLi8ELi32ELi1EEEENSB_IJLi0ELi2ELi1EEEESF_Li1ELi8ELi4ELb0ELi0ELi1ELi1ENSB_IJLi1ELi32ELi1ELi8EEEELi4ELNS_13LoopSchedulerE0ELNS_15PipelineVersionE0EDF16_DF16_EELb1ELi3EEEvNT_8ArgumentE,"axG",@progbits,_ZN2ck27kernel_gemm_xdl_cshuffle_v2INS_28GridwiseGemm_xdl_cshuffle_v2INS_13tensor_layout4gemm8RowMajorES4_S4_DF16_DF16_fDF16_DF16_NS_16tensor_operation12element_wise11PassThroughES7_S7_LNS5_6device18GemmSpecializationE0ELNS_25InMemoryDataOperationEnumE0ELi2ELi256ELi256ELi256ELi32ELi8ELi4ELi16ELi16ELi8ELi4ENS_8SequenceIJLi4ELi64ELi1EEEENSB_IJLi1ELi0ELi2EEEESD_Li2ELi8ELi8ELb0ELi0ENSB_IJLi8ELi32ELi1EEEENSB_IJLi0ELi2ELi1EEEESF_Li1ELi8ELi4ELb0ELi0ELi1ELi1ENSB_IJLi1ELi32ELi1ELi8EEEELi4ELNS_13LoopSchedulerE0ELNS_15PipelineVersionE0EDF16_DF16_EELb1ELi3EEEvNT_8ArgumentE,comdat
.Lfunc_end3:
	.size	_ZN2ck27kernel_gemm_xdl_cshuffle_v2INS_28GridwiseGemm_xdl_cshuffle_v2INS_13tensor_layout4gemm8RowMajorES4_S4_DF16_DF16_fDF16_DF16_NS_16tensor_operation12element_wise11PassThroughES7_S7_LNS5_6device18GemmSpecializationE0ELNS_25InMemoryDataOperationEnumE0ELi2ELi256ELi256ELi256ELi32ELi8ELi4ELi16ELi16ELi8ELi4ENS_8SequenceIJLi4ELi64ELi1EEEENSB_IJLi1ELi0ELi2EEEESD_Li2ELi8ELi8ELb0ELi0ENSB_IJLi8ELi32ELi1EEEENSB_IJLi0ELi2ELi1EEEESF_Li1ELi8ELi4ELb0ELi0ELi1ELi1ENSB_IJLi1ELi32ELi1ELi8EEEELi4ELNS_13LoopSchedulerE0ELNS_15PipelineVersionE0EDF16_DF16_EELb1ELi3EEEvNT_8ArgumentE, .Lfunc_end3-_ZN2ck27kernel_gemm_xdl_cshuffle_v2INS_28GridwiseGemm_xdl_cshuffle_v2INS_13tensor_layout4gemm8RowMajorES4_S4_DF16_DF16_fDF16_DF16_NS_16tensor_operation12element_wise11PassThroughES7_S7_LNS5_6device18GemmSpecializationE0ELNS_25InMemoryDataOperationEnumE0ELi2ELi256ELi256ELi256ELi32ELi8ELi4ELi16ELi16ELi8ELi4ENS_8SequenceIJLi4ELi64ELi1EEEENSB_IJLi1ELi0ELi2EEEESD_Li2ELi8ELi8ELb0ELi0ENSB_IJLi8ELi32ELi1EEEENSB_IJLi0ELi2ELi1EEEESF_Li1ELi8ELi4ELb0ELi0ELi1ELi1ENSB_IJLi1ELi32ELi1ELi8EEEELi4ELNS_13LoopSchedulerE0ELNS_15PipelineVersionE0EDF16_DF16_EELb1ELi3EEEvNT_8ArgumentE
                                        ; -- End function
	.set _ZN2ck27kernel_gemm_xdl_cshuffle_v2INS_28GridwiseGemm_xdl_cshuffle_v2INS_13tensor_layout4gemm8RowMajorES4_S4_DF16_DF16_fDF16_DF16_NS_16tensor_operation12element_wise11PassThroughES7_S7_LNS5_6device18GemmSpecializationE0ELNS_25InMemoryDataOperationEnumE0ELi2ELi256ELi256ELi256ELi32ELi8ELi4ELi16ELi16ELi8ELi4ENS_8SequenceIJLi4ELi64ELi1EEEENSB_IJLi1ELi0ELi2EEEESD_Li2ELi8ELi8ELb0ELi0ENSB_IJLi8ELi32ELi1EEEENSB_IJLi0ELi2ELi1EEEESF_Li1ELi8ELi4ELb0ELi0ELi1ELi1ENSB_IJLi1ELi32ELi1ELi8EEEELi4ELNS_13LoopSchedulerE0ELNS_15PipelineVersionE0EDF16_DF16_EELb1ELi3EEEvNT_8ArgumentE.num_vgpr, 256
	.set _ZN2ck27kernel_gemm_xdl_cshuffle_v2INS_28GridwiseGemm_xdl_cshuffle_v2INS_13tensor_layout4gemm8RowMajorES4_S4_DF16_DF16_fDF16_DF16_NS_16tensor_operation12element_wise11PassThroughES7_S7_LNS5_6device18GemmSpecializationE0ELNS_25InMemoryDataOperationEnumE0ELi2ELi256ELi256ELi256ELi32ELi8ELi4ELi16ELi16ELi8ELi4ENS_8SequenceIJLi4ELi64ELi1EEEENSB_IJLi1ELi0ELi2EEEESD_Li2ELi8ELi8ELb0ELi0ENSB_IJLi8ELi32ELi1EEEENSB_IJLi0ELi2ELi1EEEESF_Li1ELi8ELi4ELb0ELi0ELi1ELi1ENSB_IJLi1ELi32ELi1ELi8EEEELi4ELNS_13LoopSchedulerE0ELNS_15PipelineVersionE0EDF16_DF16_EELb1ELi3EEEvNT_8ArgumentE.num_agpr, 0
	.set _ZN2ck27kernel_gemm_xdl_cshuffle_v2INS_28GridwiseGemm_xdl_cshuffle_v2INS_13tensor_layout4gemm8RowMajorES4_S4_DF16_DF16_fDF16_DF16_NS_16tensor_operation12element_wise11PassThroughES7_S7_LNS5_6device18GemmSpecializationE0ELNS_25InMemoryDataOperationEnumE0ELi2ELi256ELi256ELi256ELi32ELi8ELi4ELi16ELi16ELi8ELi4ENS_8SequenceIJLi4ELi64ELi1EEEENSB_IJLi1ELi0ELi2EEEESD_Li2ELi8ELi8ELb0ELi0ENSB_IJLi8ELi32ELi1EEEENSB_IJLi0ELi2ELi1EEEESF_Li1ELi8ELi4ELb0ELi0ELi1ELi1ENSB_IJLi1ELi32ELi1ELi8EEEELi4ELNS_13LoopSchedulerE0ELNS_15PipelineVersionE0EDF16_DF16_EELb1ELi3EEEvNT_8ArgumentE.numbered_sgpr, 29
	.set _ZN2ck27kernel_gemm_xdl_cshuffle_v2INS_28GridwiseGemm_xdl_cshuffle_v2INS_13tensor_layout4gemm8RowMajorES4_S4_DF16_DF16_fDF16_DF16_NS_16tensor_operation12element_wise11PassThroughES7_S7_LNS5_6device18GemmSpecializationE0ELNS_25InMemoryDataOperationEnumE0ELi2ELi256ELi256ELi256ELi32ELi8ELi4ELi16ELi16ELi8ELi4ENS_8SequenceIJLi4ELi64ELi1EEEENSB_IJLi1ELi0ELi2EEEESD_Li2ELi8ELi8ELb0ELi0ENSB_IJLi8ELi32ELi1EEEENSB_IJLi0ELi2ELi1EEEESF_Li1ELi8ELi4ELb0ELi0ELi1ELi1ENSB_IJLi1ELi32ELi1ELi8EEEELi4ELNS_13LoopSchedulerE0ELNS_15PipelineVersionE0EDF16_DF16_EELb1ELi3EEEvNT_8ArgumentE.num_named_barrier, 0
	.set _ZN2ck27kernel_gemm_xdl_cshuffle_v2INS_28GridwiseGemm_xdl_cshuffle_v2INS_13tensor_layout4gemm8RowMajorES4_S4_DF16_DF16_fDF16_DF16_NS_16tensor_operation12element_wise11PassThroughES7_S7_LNS5_6device18GemmSpecializationE0ELNS_25InMemoryDataOperationEnumE0ELi2ELi256ELi256ELi256ELi32ELi8ELi4ELi16ELi16ELi8ELi4ENS_8SequenceIJLi4ELi64ELi1EEEENSB_IJLi1ELi0ELi2EEEESD_Li2ELi8ELi8ELb0ELi0ENSB_IJLi8ELi32ELi1EEEENSB_IJLi0ELi2ELi1EEEESF_Li1ELi8ELi4ELb0ELi0ELi1ELi1ENSB_IJLi1ELi32ELi1ELi8EEEELi4ELNS_13LoopSchedulerE0ELNS_15PipelineVersionE0EDF16_DF16_EELb1ELi3EEEvNT_8ArgumentE.private_seg_size, 1520
	.set _ZN2ck27kernel_gemm_xdl_cshuffle_v2INS_28GridwiseGemm_xdl_cshuffle_v2INS_13tensor_layout4gemm8RowMajorES4_S4_DF16_DF16_fDF16_DF16_NS_16tensor_operation12element_wise11PassThroughES7_S7_LNS5_6device18GemmSpecializationE0ELNS_25InMemoryDataOperationEnumE0ELi2ELi256ELi256ELi256ELi32ELi8ELi4ELi16ELi16ELi8ELi4ENS_8SequenceIJLi4ELi64ELi1EEEENSB_IJLi1ELi0ELi2EEEESD_Li2ELi8ELi8ELb0ELi0ENSB_IJLi8ELi32ELi1EEEENSB_IJLi0ELi2ELi1EEEESF_Li1ELi8ELi4ELb0ELi0ELi1ELi1ENSB_IJLi1ELi32ELi1ELi8EEEELi4ELNS_13LoopSchedulerE0ELNS_15PipelineVersionE0EDF16_DF16_EELb1ELi3EEEvNT_8ArgumentE.uses_vcc, 0
	.set _ZN2ck27kernel_gemm_xdl_cshuffle_v2INS_28GridwiseGemm_xdl_cshuffle_v2INS_13tensor_layout4gemm8RowMajorES4_S4_DF16_DF16_fDF16_DF16_NS_16tensor_operation12element_wise11PassThroughES7_S7_LNS5_6device18GemmSpecializationE0ELNS_25InMemoryDataOperationEnumE0ELi2ELi256ELi256ELi256ELi32ELi8ELi4ELi16ELi16ELi8ELi4ENS_8SequenceIJLi4ELi64ELi1EEEENSB_IJLi1ELi0ELi2EEEESD_Li2ELi8ELi8ELb0ELi0ENSB_IJLi8ELi32ELi1EEEENSB_IJLi0ELi2ELi1EEEESF_Li1ELi8ELi4ELb0ELi0ELi1ELi1ENSB_IJLi1ELi32ELi1ELi8EEEELi4ELNS_13LoopSchedulerE0ELNS_15PipelineVersionE0EDF16_DF16_EELb1ELi3EEEvNT_8ArgumentE.uses_flat_scratch, 1
	.set _ZN2ck27kernel_gemm_xdl_cshuffle_v2INS_28GridwiseGemm_xdl_cshuffle_v2INS_13tensor_layout4gemm8RowMajorES4_S4_DF16_DF16_fDF16_DF16_NS_16tensor_operation12element_wise11PassThroughES7_S7_LNS5_6device18GemmSpecializationE0ELNS_25InMemoryDataOperationEnumE0ELi2ELi256ELi256ELi256ELi32ELi8ELi4ELi16ELi16ELi8ELi4ENS_8SequenceIJLi4ELi64ELi1EEEENSB_IJLi1ELi0ELi2EEEESD_Li2ELi8ELi8ELb0ELi0ENSB_IJLi8ELi32ELi1EEEENSB_IJLi0ELi2ELi1EEEESF_Li1ELi8ELi4ELb0ELi0ELi1ELi1ENSB_IJLi1ELi32ELi1ELi8EEEELi4ELNS_13LoopSchedulerE0ELNS_15PipelineVersionE0EDF16_DF16_EELb1ELi3EEEvNT_8ArgumentE.has_dyn_sized_stack, 0
	.set _ZN2ck27kernel_gemm_xdl_cshuffle_v2INS_28GridwiseGemm_xdl_cshuffle_v2INS_13tensor_layout4gemm8RowMajorES4_S4_DF16_DF16_fDF16_DF16_NS_16tensor_operation12element_wise11PassThroughES7_S7_LNS5_6device18GemmSpecializationE0ELNS_25InMemoryDataOperationEnumE0ELi2ELi256ELi256ELi256ELi32ELi8ELi4ELi16ELi16ELi8ELi4ENS_8SequenceIJLi4ELi64ELi1EEEENSB_IJLi1ELi0ELi2EEEESD_Li2ELi8ELi8ELb0ELi0ENSB_IJLi8ELi32ELi1EEEENSB_IJLi0ELi2ELi1EEEESF_Li1ELi8ELi4ELb0ELi0ELi1ELi1ENSB_IJLi1ELi32ELi1ELi8EEEELi4ELNS_13LoopSchedulerE0ELNS_15PipelineVersionE0EDF16_DF16_EELb1ELi3EEEvNT_8ArgumentE.has_recursion, 0
	.set _ZN2ck27kernel_gemm_xdl_cshuffle_v2INS_28GridwiseGemm_xdl_cshuffle_v2INS_13tensor_layout4gemm8RowMajorES4_S4_DF16_DF16_fDF16_DF16_NS_16tensor_operation12element_wise11PassThroughES7_S7_LNS5_6device18GemmSpecializationE0ELNS_25InMemoryDataOperationEnumE0ELi2ELi256ELi256ELi256ELi32ELi8ELi4ELi16ELi16ELi8ELi4ENS_8SequenceIJLi4ELi64ELi1EEEENSB_IJLi1ELi0ELi2EEEESD_Li2ELi8ELi8ELb0ELi0ENSB_IJLi8ELi32ELi1EEEENSB_IJLi0ELi2ELi1EEEESF_Li1ELi8ELi4ELb0ELi0ELi1ELi1ENSB_IJLi1ELi32ELi1ELi8EEEELi4ELNS_13LoopSchedulerE0ELNS_15PipelineVersionE0EDF16_DF16_EELb1ELi3EEEvNT_8ArgumentE.has_indirect_call, 0
	.section	.AMDGPU.csdata,"",@progbits
; Kernel info:
; codeLenInByte = 29364
; TotalNumSgprs: 29
; NumVgprs: 256
; ScratchSize: 1520
; MemoryBound: 0
; FloatMode: 240
; IeeeMode: 1
; LDSByteSize: 65536 bytes/workgroup (compile time only)
; SGPRBlocks: 0
; VGPRBlocks: 31
; NumSGPRsForWavesPerEU: 29
; NumVGPRsForWavesPerEU: 256
; Occupancy: 4
; WaveLimiterHint : 0
; COMPUTE_PGM_RSRC2:SCRATCH_EN: 1
; COMPUTE_PGM_RSRC2:USER_SGPR: 2
; COMPUTE_PGM_RSRC2:TRAP_HANDLER: 0
; COMPUTE_PGM_RSRC2:TGID_X_EN: 1
; COMPUTE_PGM_RSRC2:TGID_Y_EN: 0
; COMPUTE_PGM_RSRC2:TGID_Z_EN: 0
; COMPUTE_PGM_RSRC2:TIDIG_COMP_CNT: 0
	.section	.text._ZN2ck27kernel_gemm_xdl_cshuffle_v2INS_28GridwiseGemm_xdl_cshuffle_v2INS_13tensor_layout4gemm8RowMajorES4_S4_DF16_DF16_fDF16_DF16_NS_16tensor_operation12element_wise11PassThroughES7_S7_LNS5_6device18GemmSpecializationE0ELNS_25InMemoryDataOperationEnumE0ELi2ELi256ELi256ELi256ELi32ELi8ELi4ELi16ELi16ELi8ELi4ENS_8SequenceIJLi4ELi64ELi1EEEENSB_IJLi1ELi0ELi2EEEESD_Li2ELi8ELi8ELb0ELi0ENSB_IJLi8ELi32ELi1EEEENSB_IJLi0ELi2ELi1EEEESF_Li1ELi8ELi4ELb0ELi0ELi1ELi1ENSB_IJLi1ELi32ELi1ELi8EEEELi4ELNS_13LoopSchedulerE0ELNS_15PipelineVersionE0EDF16_DF16_EELb1ELi2EEEvNT_8ArgumentE,"axG",@progbits,_ZN2ck27kernel_gemm_xdl_cshuffle_v2INS_28GridwiseGemm_xdl_cshuffle_v2INS_13tensor_layout4gemm8RowMajorES4_S4_DF16_DF16_fDF16_DF16_NS_16tensor_operation12element_wise11PassThroughES7_S7_LNS5_6device18GemmSpecializationE0ELNS_25InMemoryDataOperationEnumE0ELi2ELi256ELi256ELi256ELi32ELi8ELi4ELi16ELi16ELi8ELi4ENS_8SequenceIJLi4ELi64ELi1EEEENSB_IJLi1ELi0ELi2EEEESD_Li2ELi8ELi8ELb0ELi0ENSB_IJLi8ELi32ELi1EEEENSB_IJLi0ELi2ELi1EEEESF_Li1ELi8ELi4ELb0ELi0ELi1ELi1ENSB_IJLi1ELi32ELi1ELi8EEEELi4ELNS_13LoopSchedulerE0ELNS_15PipelineVersionE0EDF16_DF16_EELb1ELi2EEEvNT_8ArgumentE,comdat
	.protected	_ZN2ck27kernel_gemm_xdl_cshuffle_v2INS_28GridwiseGemm_xdl_cshuffle_v2INS_13tensor_layout4gemm8RowMajorES4_S4_DF16_DF16_fDF16_DF16_NS_16tensor_operation12element_wise11PassThroughES7_S7_LNS5_6device18GemmSpecializationE0ELNS_25InMemoryDataOperationEnumE0ELi2ELi256ELi256ELi256ELi32ELi8ELi4ELi16ELi16ELi8ELi4ENS_8SequenceIJLi4ELi64ELi1EEEENSB_IJLi1ELi0ELi2EEEESD_Li2ELi8ELi8ELb0ELi0ENSB_IJLi8ELi32ELi1EEEENSB_IJLi0ELi2ELi1EEEESF_Li1ELi8ELi4ELb0ELi0ELi1ELi1ENSB_IJLi1ELi32ELi1ELi8EEEELi4ELNS_13LoopSchedulerE0ELNS_15PipelineVersionE0EDF16_DF16_EELb1ELi2EEEvNT_8ArgumentE ; -- Begin function _ZN2ck27kernel_gemm_xdl_cshuffle_v2INS_28GridwiseGemm_xdl_cshuffle_v2INS_13tensor_layout4gemm8RowMajorES4_S4_DF16_DF16_fDF16_DF16_NS_16tensor_operation12element_wise11PassThroughES7_S7_LNS5_6device18GemmSpecializationE0ELNS_25InMemoryDataOperationEnumE0ELi2ELi256ELi256ELi256ELi32ELi8ELi4ELi16ELi16ELi8ELi4ENS_8SequenceIJLi4ELi64ELi1EEEENSB_IJLi1ELi0ELi2EEEESD_Li2ELi8ELi8ELb0ELi0ENSB_IJLi8ELi32ELi1EEEENSB_IJLi0ELi2ELi1EEEESF_Li1ELi8ELi4ELb0ELi0ELi1ELi1ENSB_IJLi1ELi32ELi1ELi8EEEELi4ELNS_13LoopSchedulerE0ELNS_15PipelineVersionE0EDF16_DF16_EELb1ELi2EEEvNT_8ArgumentE
	.globl	_ZN2ck27kernel_gemm_xdl_cshuffle_v2INS_28GridwiseGemm_xdl_cshuffle_v2INS_13tensor_layout4gemm8RowMajorES4_S4_DF16_DF16_fDF16_DF16_NS_16tensor_operation12element_wise11PassThroughES7_S7_LNS5_6device18GemmSpecializationE0ELNS_25InMemoryDataOperationEnumE0ELi2ELi256ELi256ELi256ELi32ELi8ELi4ELi16ELi16ELi8ELi4ENS_8SequenceIJLi4ELi64ELi1EEEENSB_IJLi1ELi0ELi2EEEESD_Li2ELi8ELi8ELb0ELi0ENSB_IJLi8ELi32ELi1EEEENSB_IJLi0ELi2ELi1EEEESF_Li1ELi8ELi4ELb0ELi0ELi1ELi1ENSB_IJLi1ELi32ELi1ELi8EEEELi4ELNS_13LoopSchedulerE0ELNS_15PipelineVersionE0EDF16_DF16_EELb1ELi2EEEvNT_8ArgumentE
	.p2align	8
	.type	_ZN2ck27kernel_gemm_xdl_cshuffle_v2INS_28GridwiseGemm_xdl_cshuffle_v2INS_13tensor_layout4gemm8RowMajorES4_S4_DF16_DF16_fDF16_DF16_NS_16tensor_operation12element_wise11PassThroughES7_S7_LNS5_6device18GemmSpecializationE0ELNS_25InMemoryDataOperationEnumE0ELi2ELi256ELi256ELi256ELi32ELi8ELi4ELi16ELi16ELi8ELi4ENS_8SequenceIJLi4ELi64ELi1EEEENSB_IJLi1ELi0ELi2EEEESD_Li2ELi8ELi8ELb0ELi0ENSB_IJLi8ELi32ELi1EEEENSB_IJLi0ELi2ELi1EEEESF_Li1ELi8ELi4ELb0ELi0ELi1ELi1ENSB_IJLi1ELi32ELi1ELi8EEEELi4ELNS_13LoopSchedulerE0ELNS_15PipelineVersionE0EDF16_DF16_EELb1ELi2EEEvNT_8ArgumentE,@function
_ZN2ck27kernel_gemm_xdl_cshuffle_v2INS_28GridwiseGemm_xdl_cshuffle_v2INS_13tensor_layout4gemm8RowMajorES4_S4_DF16_DF16_fDF16_DF16_NS_16tensor_operation12element_wise11PassThroughES7_S7_LNS5_6device18GemmSpecializationE0ELNS_25InMemoryDataOperationEnumE0ELi2ELi256ELi256ELi256ELi32ELi8ELi4ELi16ELi16ELi8ELi4ENS_8SequenceIJLi4ELi64ELi1EEEENSB_IJLi1ELi0ELi2EEEESD_Li2ELi8ELi8ELb0ELi0ENSB_IJLi8ELi32ELi1EEEENSB_IJLi0ELi2ELi1EEEESF_Li1ELi8ELi4ELb0ELi0ELi1ELi1ENSB_IJLi1ELi32ELi1ELi8EEEELi4ELNS_13LoopSchedulerE0ELNS_15PipelineVersionE0EDF16_DF16_EELb1ELi2EEEvNT_8ArgumentE: ; @_ZN2ck27kernel_gemm_xdl_cshuffle_v2INS_28GridwiseGemm_xdl_cshuffle_v2INS_13tensor_layout4gemm8RowMajorES4_S4_DF16_DF16_fDF16_DF16_NS_16tensor_operation12element_wise11PassThroughES7_S7_LNS5_6device18GemmSpecializationE0ELNS_25InMemoryDataOperationEnumE0ELi2ELi256ELi256ELi256ELi32ELi8ELi4ELi16ELi16ELi8ELi4ENS_8SequenceIJLi4ELi64ELi1EEEENSB_IJLi1ELi0ELi2EEEESD_Li2ELi8ELi8ELb0ELi0ENSB_IJLi8ELi32ELi1EEEENSB_IJLi0ELi2ELi1EEEESF_Li1ELi8ELi4ELb0ELi0ELi1ELi1ENSB_IJLi1ELi32ELi1ELi8EEEELi4ELNS_13LoopSchedulerE0ELNS_15PipelineVersionE0EDF16_DF16_EELb1ELi2EEEvNT_8ArgumentE
; %bb.0:
	s_clause 0x4
	s_load_b128 s[4:7], s[0:1], 0x10
	s_load_b64 s[24:25], s[0:1], 0x20
	s_load_b32 s10, s[0:1], 0x34
	s_load_b128 s[16:19], s[0:1], 0x48
	s_load_b64 s[0:1], s[0:1], 0x58
	s_mov_b32 s26, ttmp9
	s_mov_b32 s2, 0
	s_wait_kmcnt 0x0
	s_add_co_i32 s3, s4, -1
	s_delay_alu instid0(SALU_CYCLE_1)
	s_cmp_lt_u32 s3, 0x100
	s_cbranch_scc1 .LBB4_4
; %bb.1:
	s_add_co_i32 s8, s5, -1
	s_delay_alu instid0(SALU_CYCLE_1)
	s_cmp_lt_u32 s8, 0x100
	s_mov_b32 s8, 0
	s_cbranch_scc1 .LBB4_8
; %bb.2:
	s_addk_co_i32 s4, 0xff
	s_add_co_i32 s8, s5, 0xff
	s_ashr_i32 s9, s4, 31
	s_ashr_i32 s11, s8, 31
	s_lshr_b32 s9, s9, 24
	s_lshr_b32 s11, s11, 24
	s_add_co_i32 s4, s4, s9
	s_add_co_i32 s9, s8, s11
	s_ashr_i32 s8, s4, 8
	s_ashr_i32 s4, s9, 8
	s_ashr_i32 s13, ttmp9, 31
	s_mul_i32 s9, s4, s8
	s_delay_alu instid0(SALU_CYCLE_1) | instskip(NEXT) | instid1(SALU_CYCLE_1)
	s_add_co_i32 s11, s9, 7
	s_ashr_i32 s12, s11, 31
	s_delay_alu instid0(SALU_CYCLE_1) | instskip(NEXT) | instid1(SALU_CYCLE_1)
	s_lshr_b32 s12, s12, 29
	s_add_co_i32 s15, s11, s12
	s_lshr_b32 s11, s13, 29
	s_and_b32 s12, s15, -8
	s_add_co_i32 s14, ttmp9, s11
	s_sub_co_i32 s11, s9, s12
	s_and_b32 s9, s14, -8
	s_add_co_i32 s11, s11, 8
	s_sub_co_i32 s12, ttmp9, s9
	s_ashr_i32 s13, s15, 3
	s_cmp_gt_i32 s12, s11
	s_cbranch_scc1 .LBB4_5
; %bb.3:
	s_mul_i32 s9, s13, s12
	s_ashr_i32 s14, s14, 3
	s_cbranch_execz .LBB4_6
	s_branch .LBB4_7
.LBB4_4:
	s_mov_b32 s4, s2
	s_branch .LBB4_9
.LBB4_5:
                                        ; implicit-def: $sgpr9
	s_ashr_i32 s14, s14, 3
.LBB4_6:
	s_add_co_i32 s9, s13, -1
	s_delay_alu instid0(SALU_CYCLE_1) | instskip(NEXT) | instid1(SALU_CYCLE_1)
	s_mul_i32 s9, s9, s12
	s_add_co_i32 s9, s11, s9
.LBB4_7:
	s_abs_i32 s11, s4
	s_add_co_i32 s9, s9, s14
	s_cvt_f32_u32 s12, s11
	s_sub_co_i32 s13, 0, s11
	s_abs_i32 s14, s9
	s_delay_alu instid0(SALU_CYCLE_1) | instskip(NEXT) | instid1(TRANS32_DEP_1)
	v_rcp_iflag_f32_e32 v1, s12
	v_readfirstlane_b32 s12, v1
	s_mul_f32 s12, s12, 0x4f7ffffe
	s_wait_alu 0xfffe
	s_delay_alu instid0(SALU_CYCLE_2) | instskip(SKIP_1) | instid1(SALU_CYCLE_2)
	s_cvt_u32_f32 s12, s12
	s_wait_alu 0xfffe
	s_mul_i32 s13, s13, s12
	s_wait_alu 0xfffe
	s_mul_hi_u32 s13, s12, s13
	s_wait_alu 0xfffe
	s_add_co_i32 s12, s12, s13
	s_xor_b32 s13, s9, s4
	s_wait_alu 0xfffe
	s_mul_hi_u32 s12, s14, s12
	s_ashr_i32 s13, s13, 31
	s_wait_alu 0xfffe
	s_mul_i32 s15, s12, s11
	s_delay_alu instid0(SALU_CYCLE_1)
	s_sub_co_i32 s14, s14, s15
	s_add_co_i32 s15, s12, 1
	s_sub_co_i32 s20, s14, s11
	s_cmp_ge_u32 s14, s11
	s_cselect_b32 s12, s15, s12
	s_cselect_b32 s14, s20, s14
	s_wait_alu 0xfffe
	s_add_co_i32 s15, s12, 1
	s_cmp_ge_u32 s14, s11
	s_cselect_b32 s11, s15, s12
	s_lshr_b32 s12, s8, 30
	s_xor_b32 s11, s11, s13
	s_wait_alu 0xfffe
	s_add_co_i32 s12, s8, s12
	s_sub_co_i32 s11, s11, s13
	s_wait_alu 0xfffe
	s_and_b32 s12, s12, -4
	s_mul_i32 s13, s11, s4
	s_wait_alu 0xfffe
	s_sub_co_i32 s8, s8, s12
	s_sub_co_i32 s9, s9, s13
	s_cmp_ge_i32 s11, s12
	s_cselect_b32 s12, s8, 4
	s_ashr_i32 s14, s11, 31
	s_wait_alu 0xfffe
	s_abs_i32 s8, s12
	s_lshr_b32 s14, s14, 30
	s_cvt_f32_u32 s13, s8
	s_add_co_i32 s14, s11, s14
	s_sub_co_i32 s15, 0, s8
	s_and_b32 s14, s14, -4
	s_wait_alu 0xfffe
	v_rcp_iflag_f32_e32 v1, s13
	s_sub_co_i32 s14, s11, s14
	s_delay_alu instid0(SALU_CYCLE_1) | instskip(NEXT) | instid1(SALU_CYCLE_1)
	s_mul_i32 s4, s14, s4
	s_add_co_i32 s4, s4, s9
	s_delay_alu instid0(TRANS32_DEP_1) | instskip(SKIP_2) | instid1(SALU_CYCLE_2)
	v_readfirstlane_b32 s13, v1
	s_mul_f32 s13, s13, 0x4f7ffffe
	s_wait_alu 0xfffe
	s_cvt_u32_f32 s13, s13
	s_wait_alu 0xfffe
	s_delay_alu instid0(SALU_CYCLE_2) | instskip(NEXT) | instid1(SALU_CYCLE_1)
	s_mul_i32 s15, s15, s13
	s_mul_hi_u32 s9, s13, s15
	s_abs_i32 s15, s4
	s_add_co_i32 s13, s13, s9
	s_wait_alu 0xfffe
	s_mul_hi_u32 s9, s15, s13
	s_xor_b32 s13, s4, s12
	s_mul_i32 s20, s9, s8
	s_wait_alu 0xfffe
	s_ashr_i32 s13, s13, 31
	s_sub_co_i32 s15, s15, s20
	s_add_co_i32 s20, s9, 1
	s_sub_co_i32 s21, s15, s8
	s_cmp_ge_u32 s15, s8
	s_cselect_b32 s9, s20, s9
	s_cselect_b32 s15, s21, s15
	s_add_co_i32 s20, s9, 1
	s_cmp_ge_u32 s15, s8
	s_cselect_b32 s8, s20, s9
	s_wait_alu 0xfffe
	s_xor_b32 s8, s8, s13
	s_delay_alu instid0(SALU_CYCLE_1) | instskip(NEXT) | instid1(SALU_CYCLE_1)
	s_sub_co_i32 s8, s8, s13
	s_mul_i32 s9, s8, s12
	s_delay_alu instid0(SALU_CYCLE_1) | instskip(NEXT) | instid1(SALU_CYCLE_1)
	s_sub_co_i32 s4, s4, s9
	s_add_co_i32 s4, s4, s11
	s_delay_alu instid0(SALU_CYCLE_1)
	s_sub_co_i32 s26, s4, s14
.LBB4_8:
	s_delay_alu instid0(SALU_CYCLE_1)
	s_mov_b32 s4, s26
	s_mov_b32 s26, s8
.LBB4_9:
	v_and_b32_e32 v34, 0xfc, v0
	v_lshrrev_b32_e32 v35, 5, v0
	v_lshlrev_b32_e32 v2, 3, v0
	s_mov_b32 s8, s7
	s_mov_b32 s9, s2
	v_lshl_or_b32 v64, s4, 8, v34
	v_lshlrev_b32_e32 v38, 2, v35
	v_and_b32_e32 v39, 3, v0
	v_and_b32_e32 v36, 0xf8, v2
	v_lshrrev_b32_e32 v49, 1, v0
	v_mul_lo_u32 v37, v64, s7
	v_mul_lo_u32 v1, v38, s24
	s_mul_u64 s[8:9], s[2:3], s[8:9]
	s_ashr_i32 s8, s10, 31
	s_lshl_b32 s11, s26, 8
	s_lshr_b32 s8, s8, 30
	s_mov_b32 s12, s24
	s_mov_b32 s13, s2
	s_add_co_i32 s15, s6, 0x7fffffff
	s_mov_b32 s14, s2
	v_lshl_add_u32 v9, v39, 3, v37
	v_add3_u32 v1, v1, v36, s11
	v_and_b32_e32 v65, 15, v0
	v_and_b32_e32 v50, 8, v49
	s_add_co_i32 s10, s10, s8
	s_wait_alu 0xfffe
	s_mul_u64 s[12:13], s[14:15], s[12:13]
	s_ashr_i32 s12, s10, 2
	scratch_store_b32 off, v2, off offset:1572 ; 4-byte Folded Spill
	; sched_barrier mask(0x00000000)
	v_add_nc_u32_e32 v2, s24, v1
	v_add_nc_u32_e32 v11, s7, v9
	s_wait_alu 0xfffe
	s_add_co_i32 s8, s5, s13
	v_lshlrev_b32_e32 v1, 1, v1
	v_lshlrev_b32_e32 v9, 1, v9
	v_add_nc_u32_e32 v10, s24, v2
	v_add_nc_u32_e32 v25, s7, v11
	s_mov_b32 s11, 0x31004000
	s_lshl_b32 s14, s8, 1
	v_lshlrev_b32_e32 v5, 1, v2
	v_add_nc_u32_e32 v40, s24, v10
	v_lshlrev_b32_e32 v10, 1, v10
	s_add_co_i32 s6, s6, s9
	v_lshlrev_b32_e32 v12, 1, v11
	v_add_nc_u32_e32 v33, s7, v25
	v_lshlrev_b32_e32 v13, 1, v40
	s_and_b32 s21, s19, 0xffff
	s_mov_b32 s20, s18
	s_mov_b32 s22, s14
	s_wait_alu 0xfffe
	s_mov_b32 s23, s11
	s_and_b32 s9, s17, 0xffff
	s_mov_b32 s8, s16
	s_lshl_b32 s10, s6, 1
	s_clause 0x1
	buffer_load_b128 v[1:4], v1, s[20:23], null offen
	buffer_load_b128 v[5:8], v5, s[20:23], null offen
	s_clause 0x1
	buffer_load_b128 v[17:20], v9, s[8:11], null offen
	buffer_load_b128 v[21:24], v12, s[8:11], null offen
	;; [unrolled: 3-line block ×3, first 2 shown]
	v_lshlrev_b32_e32 v25, 1, v25
	v_lshlrev_b32_e32 v29, 1, v33
	s_clause 0x1
	buffer_load_b128 v[25:28], v25, s[8:11], null offen
	buffer_load_b128 v[29:32], v29, s[8:11], null offen
	s_mul_i32 s19, s24, 29
	v_lshlrev_b32_e32 v42, 4, v34
	v_add_nc_u32_e32 v40, s19, v40
	v_lshlrev_b32_e32 v35, 11, v35
	v_lshlrev_b32_e32 v61, 9, v50
	s_mul_i32 s27, s7, -3
	v_lshl_or_b32 v69, v39, 12, v42
	v_add_nc_u32_e32 v41, s24, v40
	v_lshl_or_b32 v70, v36, 3, v35
	v_lshlrev_b32_e32 v35, 1, v40
	s_add_co_i32 s27, s27, 32
	v_lshlrev_b32_e32 v39, 4, v39
	v_add_nc_u32_e32 v34, s24, v41
	v_lshlrev_b32_e32 v36, 1, v41
	v_add_lshl_u32 v72, v37, s7, 1
	s_lshl_b32 s28, s26, 9
	s_add_co_i32 s6, s12, -3
	v_add_nc_u32_e32 v40, s24, v34
	s_lshl_b32 s17, s24, 7
	s_mov_b32 s12, s18
	s_mov_b32 s18, s2
	;; [unrolled: 1-line block ×4, first 2 shown]
	s_wait_loadcnt 0x5
	ds_store_b128 v69, v[17:20]
	s_wait_loadcnt 0x4
	ds_store_b128 v69, v[21:24] offset:16
	s_wait_loadcnt 0x2
	v_perm_b32 v42, v13, v9, 0x5040100
	v_perm_b32 v44, v13, v9, 0x7060302
	v_lshlrev_b32_e32 v9, 1, v34
	v_lshlrev_b32_e32 v13, 1, v40
	v_perm_b32 v41, v5, v1, 0x5040100
	v_perm_b32 v43, v5, v1, 0x7060302
	;; [unrolled: 1-line block ×14, first 2 shown]
	s_wait_loadcnt 0x1
	ds_store_b128 v69, v[25:28] offset:32
	s_wait_loadcnt 0x0
	ds_store_b128 v69, v[29:32] offset:48
	ds_store_b128 v70, v[41:44] offset:16384
	;; [unrolled: 1-line block ×5, first 2 shown]
	s_wait_dscnt 0x0
	s_barrier_signal -1
	s_barrier_wait -1
	s_clause 0x3
	buffer_load_b128 v[1:4], v35, s[20:23], null offen
	buffer_load_b128 v[5:8], v36, s[20:23], null offen
	;; [unrolled: 1-line block ×4, first 2 shown]
	v_and_or_b32 v17, v49, 48, v65
	v_add_nc_u32_e32 v18, s27, v33
	s_clause 0x1
	scratch_store_b32 off, v50, off offset:1584
	scratch_store_b32 off, v49, off offset:1576
	v_lshl_or_b32 v71, v17, 3, v61
	v_lshlrev_b32_e32 v62, 1, v18
	v_add_nc_u32_e32 v63, s7, v18
	ds_load_2addr_stride64_b64 v[17:20], v71 offset0:32 offset1:33
	ds_load_2addr_stride64_b64 v[41:44], v71 offset0:34 offset1:35
	;; [unrolled: 1-line block ×7, first 2 shown]
	s_clause 0x2
	scratch_store_b32 off, v39, off offset:1552
	scratch_store_b32 off, v65, off offset:1580
	;; [unrolled: 1-line block ×3, first 2 shown]
	v_or_b32_e32 v39, 3, v64
	s_delay_alu instid0(VALU_DEP_1)
	v_mul_lo_u32 v39, s7, v39
	s_wait_dscnt 0x6
	v_mov_b32_e32 v29, v17
	s_wait_dscnt 0x5
	v_mov_b32_e32 v33, v41
	s_wait_dscnt 0x4
	v_mov_b32_e32 v31, v21
	v_dual_mov_b32 v21, v19 :: v_dual_mov_b32 v34, v42
	s_wait_dscnt 0x3
	v_dual_mov_b32 v35, v25 :: v_dual_mov_b32 v36, v26
	v_dual_mov_b32 v25, v43 :: v_dual_mov_b32 v26, v44
	s_wait_dscnt 0x0
	v_mov_b32_e32 v17, v57
	v_lshl_add_u32 v87, v39, 1, 0x100
	v_mov_b32_e32 v30, v18
	v_mov_b32_e32 v32, v22
	;; [unrolled: 1-line block ×4, first 2 shown]
	v_add_nc_u32_e32 v40, s19, v40
	s_wait_loadcnt 0x2
	v_perm_b32 v45, v5, v1, 0x5040100
	v_perm_b32 v47, v5, v1, 0x7060302
	;; [unrolled: 1-line block ×8, first 2 shown]
	s_wait_loadcnt 0x0
	v_perm_b32 v46, v13, v9, 0x5040100
	v_perm_b32 v48, v13, v9, 0x7060302
	;; [unrolled: 1-line block ×8, first 2 shown]
	ds_load_2addr_stride64_b64 v[9:12], v71 offset0:54 offset1:55
	v_mov_b32_e32 v13, v53
	v_dual_mov_b32 v14, v54 :: v_dual_lshlrev_b32 v53, 1, v63
	v_dual_mov_b32 v15, v141 :: v_dual_mov_b32 v16, v142
	v_dual_mov_b32 v141, v55 :: v_dual_mov_b32 v142, v56
	buffer_load_b128 v[53:56], v53, s[8:11], null offen
	s_wait_dscnt 0x0
	v_mov_b32_e32 v19, v9
	v_mov_b32_e32 v9, v59
	buffer_load_b128 v[41:44], v62, s[8:11], null offen
	v_mov_b32_e32 v20, v10
	v_mov_b32_e32 v10, v60
	s_wait_loadcnt 0x0
	ds_store_b128 v69, v[41:44] offset:32768
	v_add_nc_u32_e32 v41, s7, v63
	s_delay_alu instid0(VALU_DEP_1)
	v_lshlrev_b32_e32 v42, 1, v41
	v_add_nc_u32_e32 v57, s7, v41
	buffer_load_b128 v[41:44], v42, s[8:11], null offen
	ds_store_b128 v69, v[53:56] offset:32784
	v_lshlrev_b32_e32 v53, 1, v57
	buffer_load_b128 v[53:56], v53, s[8:11], null offen
	s_wait_loadcnt 0x1
	ds_store_b128 v69, v[41:44] offset:32800
	v_or_b32_e32 v43, 0x83, v38
	v_or_b32_e32 v44, 0x82, v38
	s_wait_loadcnt 0x0
	ds_store_b128 v69, v[53:56] offset:32816
	ds_store_b128 v70, v[45:48] offset:49152
	;; [unrolled: 1-line block ×4, first 2 shown]
	v_mov_b32_e32 v49, 0
	v_and_b32_e32 v41, 0x80, v0
	v_lshlrev_b32_e32 v73, 1, v37
	v_and_b32_e32 v37, 31, v0
	s_delay_alu instid0(VALU_DEP_4)
	v_dual_mov_b32 v51, v49 :: v_dual_lshlrev_b32 v42, 4, v65
	v_or_b32_e32 v53, 0x81, v38
	v_or_b32_e32 v54, 0x80, v38
	v_dual_mov_b32 v62, v49 :: v_dual_lshlrev_b32 v41, 1, v41
	v_mov_b32_e32 v226, v49
	v_lshlrev_b32_e32 v0, 4, v37
	v_or_b32_e32 v48, 2, v64
	v_mul_lo_u32 v37, s24, v43
	v_mul_lo_u32 v43, s24, v54
	v_mov_b32_e32 v54, v49
	ds_store_b128 v70, v[5:8] offset:49200
	v_dual_mov_b32 v1, v49 :: v_dual_mov_b32 v230, v49
	v_dual_mov_b32 v2, v49 :: v_dual_mov_b32 v3, v49
	v_mov_b32_e32 v232, v49
	v_dual_mov_b32 v4, v49 :: v_dual_mov_b32 v5, v49
	v_mov_b32_e32 v218, v49
	;; [unrolled: 2-line block ×3, first 2 shown]
	v_mov_b32_e32 v64, v49
	v_or3_b32 v254, v42, v41, v61
	v_mul_lo_u32 v42, s24, v53
	v_mov_b32_e32 v53, v49
	scratch_store_b32 off, v0, off offset:1556 ; 4-byte Folded Spill
	v_mov_b32_e32 v0, v49
	s_clause 0x17
	scratch_store_b128 off, v[0:3], off offset:512
	scratch_store_b128 off, v[4:7], off offset:528
	;; [unrolled: 1-line block ×22, first 2 shown]
	scratch_store_b128 off, v[0:3], off
	scratch_store_b128 off, v[4:7], off offset:16
	v_or_b32_e32 v45, 0x63, v38
	v_or_b32_e32 v46, 0x62, v38
	;; [unrolled: 1-line block ×4, first 2 shown]
	v_mul_lo_u32 v41, s24, v44
	v_dual_mov_b32 v217, v49 :: v_dual_mov_b32 v198, v49
	v_mov_b32_e32 v50, v49
	s_delay_alu instid0(VALU_DEP_4)
	v_mul_lo_u32 v38, s24, v38
	v_dual_mov_b32 v52, v49 :: v_dual_mov_b32 v55, v49
	v_mov_b32_e32 v228, v49
	v_dual_mov_b32 v56, v49 :: v_dual_mov_b32 v61, v49
	v_dual_mov_b32 v222, v49 :: v_dual_mov_b32 v63, v49
	;; [unrolled: 1-line block ×3, first 2 shown]
	v_mov_b32_e32 v127, v49
	v_lshl_add_u32 v88, v38, 1, s28
	v_dual_mov_b32 v219, v49 :: v_dual_add_nc_u32 v38, s27, v57
	v_dual_mov_b32 v200, v49 :: v_dual_mov_b32 v221, v49
	v_dual_mov_b32 v202, v49 :: v_dual_mov_b32 v223, v49
	;; [unrolled: 1-line block ×3, first 2 shown]
	v_mov_b32_e32 v94, v217
	v_mul_lo_u32 v44, s24, v45
	v_mul_lo_u32 v45, s24, v46
	;; [unrolled: 1-line block ×4, first 2 shown]
	v_dual_mov_b32 v66, v49 :: v_dual_mov_b32 v67, v49
	v_mov_b32_e32 v96, v219
	v_dual_mov_b32 v68, v49 :: v_dual_mov_b32 v225, v49
	v_dual_mov_b32 v98, v221 :: v_dual_mov_b32 v227, v49
	;; [unrolled: 1-line block ×26, first 2 shown]
	v_mov_b32_e32 v165, v49
	v_mov_b32_e32 v125, v49
	;; [unrolled: 1-line block ×6, first 2 shown]
	v_add_nc_u32_e32 v39, s7, v38
	v_mov_b32_e32 v129, v49
	v_lshl_add_u32 v255, v37, 1, s28
	v_add_nc_u32_e32 v37, s24, v40
	v_dual_mov_b32 v153, v49 :: v_dual_lshlrev_b32 v38, 1, v38
	v_lshl_add_u32 v102, v46, 1, s28
	v_lshl_add_u32 v103, v45, 1, s28
	;; [unrolled: 1-line block ×3, first 2 shown]
	v_or_b32_e32 v253, 0x8000, v254
	s_clause 0xf
	scratch_store_b128 off, v[0:3], off offset:608
	scratch_store_b128 off, v[4:7], off offset:624
	;; [unrolled: 1-line block ×16, first 2 shown]
	v_lshl_add_u32 v1, v43, 1, s28
	s_clause 0x1
	scratch_store_b128 off, v[49:52], off offset:640
	scratch_store_b128 off, v[53:56], off offset:656
	buffer_load_b128 v[78:81], v38, s[8:11], null offen
	v_lshlrev_b32_e32 v0, 1, v47
	scratch_store_b32 off, v1, off offset:1104 ; 4-byte Folded Spill
	v_lshl_add_u32 v1, v41, 1, s28
	v_lshlrev_b32_e32 v41, 1, v39
	scratch_store_b32 off, v1, off offset:1120 ; 4-byte Folded Spill
	v_lshl_add_u32 v1, v42, 1, s28
	scratch_store_b32 off, v1, off offset:1136 ; 4-byte Folded Spill
	buffer_load_b128 v[1:4], v41, s[8:11], null offen
	v_add_nc_u32_e32 v38, s7, v39
	v_lshlrev_b32_e32 v39, 1, v40
	s_delay_alu instid0(VALU_DEP_2)
	v_lshlrev_b32_e32 v40, 1, v38
	v_add_lshl_u32 v38, v38, s7, 1
	v_mov_b32_e32 v160, v49
	s_wait_loadcnt 0x0
	scratch_store_b128 off, v[1:4], off offset:1168 ; 16-byte Folded Spill
	buffer_load_b128 v[1:4], v40, s[8:11], null offen
	v_add_nc_u32_e32 v40, s24, v37
	v_lshlrev_b32_e32 v37, 1, v37
	s_delay_alu instid0(VALU_DEP_2)
	v_add_lshl_u32 v41, v40, s24, 1
	v_lshlrev_b32_e32 v40, 1, v40
	s_wait_loadcnt 0x0
	scratch_store_b128 off, v[1:4], off offset:1184 ; 16-byte Folded Spill
	buffer_load_b128 v[1:4], v38, s[8:11], null offen
	s_wait_loadcnt 0x0
	s_clause 0x1
	scratch_store_b128 off, v[1:4], off offset:1152
	scratch_store_b32 off, v71, off offset:1548
	v_or_b32_e32 v1, 0x8000, v71
	s_clause 0x1
	scratch_store_b32 off, v1, off offset:1536
	scratch_store_b32 off, v70, off offset:1544
	v_or_b32_e32 v1, 0x8000, v70
	s_clause 0x1
	scratch_store_b32 off, v1, off offset:1560
	scratch_store_b32 off, v69, off offset:1540
	v_or_b32_e32 v1, 0x8000, v69
	scratch_store_b32 off, v1, off offset:1564 ; 4-byte Folded Spill
	s_clause 0x3
	buffer_load_b128 v[49:52], v41, s[20:23], null offen
	buffer_load_b128 v[45:48], v40, s[20:23], null offen
	;; [unrolled: 1-line block ×4, first 2 shown]
	ds_load_b128 v[1:4], v254 offset:11776
	s_wait_dscnt 0x0
	scratch_store_b128 off, v[1:4], off offset:928 ; 16-byte Folded Spill
	ds_load_b128 v[1:4], v254 offset:11264
	s_wait_dscnt 0x0
	scratch_store_b128 off, v[1:4], off offset:944 ; 16-byte Folded Spill
	;; [unrolled: 3-line block ×9, first 2 shown]
	ds_load_b128 v[145:148], v254 offset:3072
	ds_load_b128 v[149:152], v254 offset:2560
	;; [unrolled: 1-line block ×3, first 2 shown]
	s_wait_dscnt 0x0
	scratch_store_b128 off, v[1:4], off offset:1056 ; 16-byte Folded Spill
	ds_load_b128 v[89:92], v254 offset:1536
	ds_load_b128 v[1:4], v254 offset:1024
	;; [unrolled: 1-line block ×3, first 2 shown]
	ds_load_b128 v[106:109], v254
.LBB4_10:                               ; =>This Inner Loop Header: Depth=1
	s_clause 0x4
	scratch_store_b32 off, v88, off offset:1264
	scratch_store_b32 off, v87, off offset:1248
	;; [unrolled: 1-line block ×5, first 2 shown]
	s_wait_dscnt 0x0
	s_barrier_signal -1
	s_barrier_wait -1
	s_clause 0x1
	scratch_load_b128 v[133:136], off, off offset:512 th:TH_LOAD_LU
	scratch_load_b128 v[137:140], off, off offset:528 th:TH_LOAD_LU
	s_wait_loadcnt 0x2
	v_perm_b32 v53, v249, v237, 0x5040100
	v_perm_b32 v55, v249, v237, 0x7060302
	;; [unrolled: 1-line block ×16, first 2 shown]
	s_clause 0x3
	scratch_load_b128 v[245:248], off, off offset:832 th:TH_LOAD_LU
	scratch_load_b128 v[169:172], off, off offset:800 th:TH_LOAD_LU
	;; [unrolled: 1-line block ×4, first 2 shown]
	s_wait_loadcnt 0x4
	v_wmma_f32_16x16x16_f16 v[133:140], v[117:120], v[25:28], v[133:140]
	ds_load_b128 v[5:8], v253
	ds_load_b128 v[213:216], v253 offset:3072
	v_wmma_f32_16x16x16_f16 v[61:68], v[89:92], v[21:24], v[61:68]
	; sched_group_barrier mask(0x00000008) size(1) SyncID(0)
	; sched_group_barrier mask(0x00000100) size(2) SyncID(0)
	;; [unrolled: 1-line block ×4, first 2 shown]
	s_clause 0x1
	scratch_store_b128 off, v[61:64], off offset:160
	scratch_store_b128 off, v[65:68], off offset:176
	s_clause 0x1
	scratch_load_b128 v[61:64], off, off offset:896 th:TH_LOAD_LU
	scratch_load_b128 v[65:68], off, off offset:912 th:TH_LOAD_LU
	s_wait_loadcnt 0x0
	v_wmma_f32_16x16x16_f16 v[61:68], v[89:92], v[25:28], v[61:68]
	scratch_load_b128 v[233:236], off, off offset:768 th:TH_LOAD_LU ; 16-byte Folded Reload
	v_wmma_f32_16x16x16_f16 v[201:208], v[149:152], v[21:24], v[201:208]
	v_wmma_f32_16x16x16_f16 v[185:192], v[149:152], v[33:36], v[185:192]
	;; [unrolled: 1-line block ×5, first 2 shown]
	scratch_load_b128 v[237:240], off, off offset:784 th:TH_LOAD_LU ; 16-byte Folded Reload
	s_wait_dscnt 0x1
	s_clause 0x8
	scratch_store_b128 off, v[5:8], off offset:768
	scratch_store_b128 off, v[185:188], off offset:256
	;; [unrolled: 1-line block ×9, first 2 shown]
	; sched_group_barrier mask(0x00000008) size(1) SyncID(0)
	; sched_group_barrier mask(0x00000020) size(1) SyncID(0)
	;; [unrolled: 1-line block ×4, first 2 shown]
	s_wait_loadcnt 0x0
	v_wmma_f32_16x16x16_f16 v[233:240], v[106:109], v[29:32], v[233:240]
	scratch_load_b32 v105, off, off offset:1536 ; 4-byte Folded Reload
	s_wait_loadcnt 0x0
	ds_load_2addr_stride64_b64 v[5:8], v105 offset0:32 offset1:33
	s_clause 0x1
	scratch_load_b128 v[45:48], off, off offset:416
	scratch_load_b128 v[49:52], off, off offset:432
	s_wait_dscnt 0x0
	scratch_store_b128 off, v[5:8], off offset:1328 ; 16-byte Folded Spill
	s_wait_loadcnt 0x0
	v_wmma_f32_16x16x16_f16 v[45:52], v[106:109], v[21:24], v[45:52]
	scratch_load_b32 v8, off, off offset:1540 ; 4-byte Folded Reload
	s_clause 0x1
	scratch_store_b128 off, v[45:48], off offset:416
	scratch_store_b128 off, v[49:52], off offset:432
	s_clause 0x1
	scratch_load_b128 v[161:164], off, off offset:416 th:TH_LOAD_LU
	scratch_load_b128 v[165:168], off, off offset:432 th:TH_LOAD_LU
	s_wait_loadcnt 0x2
	ds_store_b128 v8, v[78:81]
	s_clause 0x1
	scratch_load_b128 v[78:81], off, off offset:640 th:TH_LOAD_LU
	scratch_load_b128 v[82:85], off, off offset:656 th:TH_LOAD_LU
	s_wait_loadcnt 0x0
	v_wmma_f32_16x16x16_f16 v[78:85], v[1:4], v[29:32], v[78:85]
	s_clause 0x1
	scratch_load_b128 v[45:48], off, off offset:576
	scratch_load_b128 v[49:52], off, off offset:592
	s_wait_loadcnt 0x0
	v_wmma_f32_16x16x16_f16 v[45:52], v[106:109], v[33:36], v[45:52]
	scratch_load_b32 v86, off, off offset:1552 ; 4-byte Folded Reload
	s_clause 0x1
	scratch_store_b128 off, v[45:48], off offset:576
	scratch_store_b128 off, v[49:52], off offset:592
	s_wait_loadcnt 0x0
	v_add_nc_u32_e32 v5, v86, v73
	v_add_nc_u32_e32 v0, v86, v0
	scratch_store_b32 off, v5, off offset:1280 ; 4-byte Folded Spill
	buffer_load_b128 v[45:48], v5, s[8:11], null offen offset:192
	v_add_nc_u32_e32 v5, v86, v72
	s_clause 0x1
	scratch_load_b128 v[69:72], off, off
	scratch_load_b128 v[73:76], off, off offset:16
	s_wait_loadcnt 0x2
	scratch_store_b128 off, v[45:48], off offset:1296 ; 16-byte Folded Spill
	s_wait_loadcnt 0x0
	v_wmma_f32_16x16x16_f16 v[69:76], v[89:92], v[29:32], v[69:76]
	s_clause 0x1
	scratch_load_b128 v[45:48], off, off offset:544
	scratch_load_b128 v[49:52], off, off offset:560
	s_clause 0x1
	scratch_store_b128 off, v[69:72], off
	scratch_store_b128 off, v[73:76], off offset:16
	s_clause 0x1
	scratch_load_b128 v[73:76], off, off offset:1152 th:TH_LOAD_LU
	scratch_load_b128 v[69:72], off, off offset:1056 th:TH_LOAD_LU
	s_wait_loadcnt 0x2
	v_wmma_f32_16x16x16_f16 v[45:52], v[106:109], v[25:28], v[45:52]
	v_dual_mov_b32 v106, v102 :: v_dual_mov_b32 v107, v103
	v_mov_b32_e32 v108, v104
	s_clause 0x1
	scratch_store_b128 off, v[45:48], off offset:544
	scratch_store_b128 off, v[49:52], off offset:560
	s_clause 0x1
	scratch_load_b128 v[45:48], off, off offset:448
	scratch_load_b128 v[49:52], off, off offset:464
	s_wait_loadcnt 0x0
	v_wmma_f32_16x16x16_f16 v[45:52], v[117:120], v[29:32], v[45:52]
	s_clause 0x1
	scratch_store_b128 off, v[45:48], off offset:448
	scratch_store_b128 off, v[49:52], off offset:464
	s_clause 0x1
	scratch_load_b128 v[45:48], off, off offset:736
	scratch_load_b128 v[49:52], off, off offset:752
	s_wait_loadcnt 0x0
	v_wmma_f32_16x16x16_f16 v[45:52], v[117:120], v[21:24], v[45:52]
	s_clause 0x1
	scratch_store_b128 off, v[45:48], off offset:736
	scratch_store_b128 off, v[49:52], off offset:752
	s_clause 0x1
	scratch_load_b128 v[45:48], off, off offset:480
	scratch_load_b128 v[49:52], off, off offset:496
	s_wait_loadcnt 0x0
	v_wmma_f32_16x16x16_f16 v[45:52], v[117:120], v[33:36], v[45:52]
	v_dual_mov_b32 v113, v133 :: v_dual_mov_b32 v114, v134
	v_dual_mov_b32 v115, v135 :: v_dual_mov_b32 v116, v136
	s_clause 0x1
	scratch_store_b128 off, v[45:48], off offset:480
	scratch_store_b128 off, v[49:52], off offset:496
	scratch_load_b128 v[49:52], off, off offset:1168 th:TH_LOAD_LU ; 16-byte Folded Reload
	v_dual_mov_b32 v117, v137 :: v_dual_mov_b32 v118, v138
	v_dual_mov_b32 v119, v139 :: v_dual_mov_b32 v120, v140
	s_clause 0x1
	scratch_load_b128 v[133:136], off, off offset:864 th:TH_LOAD_LU
	scratch_load_b128 v[137:140], off, off offset:880 th:TH_LOAD_LU
	s_clause 0x1
	scratch_store_b32 off, v0, off offset:864
	scratch_store_b32 off, v5, off offset:1168
	s_wait_loadcnt 0x2
	ds_store_b128 v8, v[49:52] offset:16
	buffer_load_b128 v[49:52], v5, s[8:11], null offen offset:192
	s_wait_loadcnt 0x0
	scratch_store_b128 off, v[49:52], off offset:1312 ; 16-byte Folded Spill
	s_clause 0x1
	scratch_load_b128 v[45:48], off, off offset:704
	scratch_load_b128 v[49:52], off, off offset:720
	s_wait_loadcnt 0x0
	v_wmma_f32_16x16x16_f16 v[45:52], v[1:4], v[21:24], v[45:52]
	s_clause 0x1
	scratch_store_b128 off, v[45:48], off offset:704
	scratch_store_b128 off, v[49:52], off offset:720
	s_clause 0x1
	scratch_load_b128 v[45:48], off, off offset:672
	scratch_load_b128 v[49:52], off, off offset:688
	s_wait_loadcnt 0x0
	v_wmma_f32_16x16x16_f16 v[45:52], v[1:4], v[33:36], v[45:52]
	v_wmma_f32_16x16x16_f16 v[133:140], v[1:4], v[25:28], v[133:140]
	scratch_load_b128 v[1:4], off, off offset:1184 th:TH_LOAD_LU ; 16-byte Folded Reload
	s_clause 0x1
	scratch_store_b128 off, v[45:48], off offset:672
	scratch_store_b128 off, v[49:52], off offset:688
	s_clause 0x1
	scratch_load_b128 v[177:180], off, off offset:672 th:TH_LOAD_LU
	scratch_load_b128 v[181:184], off, off offset:688 th:TH_LOAD_LU
	s_wait_loadcnt 0x2
	ds_store_b128 v8, v[1:4] offset:32
	buffer_load_b128 v[0:3], v0, s[8:11], null offen offset:192
	s_wait_loadcnt 0x0
	scratch_store_b128 off, v[0:3], off offset:1184 ; 16-byte Folded Spill
	s_clause 0x1
	scratch_load_b128 v[0:3], off, off offset:608
	scratch_load_b128 v[4:7], off, off offset:624
	s_wait_loadcnt 0x0
	v_wmma_f32_16x16x16_f16 v[0:7], v[89:92], v[33:36], v[0:7]
	v_mov_b32_e32 v89, v94
	v_dual_mov_b32 v90, v95 :: v_dual_mov_b32 v91, v96
	v_mov_b32_e32 v92, v97
	s_clause 0x1
	scratch_store_b128 off, v[0:3], off offset:608
	scratch_store_b128 off, v[4:7], off offset:624
	ds_load_b128 v[0:3], v253 offset:1024
	v_dual_mov_b32 v93, v98 :: v_dual_mov_b32 v94, v99
	v_mov_b32_e32 v95, v100
	v_dual_mov_b32 v96, v101 :: v_dual_mov_b32 v97, v193
	v_dual_mov_b32 v98, v194 :: v_dual_mov_b32 v99, v195
	v_dual_mov_b32 v100, v196 :: v_dual_mov_b32 v101, v197
	v_dual_mov_b32 v102, v198 :: v_dual_mov_b32 v103, v199
	v_mov_b32_e32 v104, v200
	s_wait_dscnt 0x0
	scratch_store_b128 off, v[0:3], off offset:1408 ; 16-byte Folded Spill
	ds_load_b128 v[0:3], v253 offset:1536
	s_wait_dscnt 0x0
	scratch_store_b128 off, v[0:3], off offset:1344 ; 16-byte Folded Spill
	v_add_nc_u32_e32 v0, v86, v87
	s_delay_alu instid0(VALU_DEP_1)
	v_subrev_nc_u32_e32 v77, 64, v0
	scratch_store_b32 off, v0, off offset:832 ; 4-byte Folded Spill
	buffer_load_b128 v[0:3], v77, s[8:11], null offen
	scratch_load_b32 v77, off, off offset:1544 ; 4-byte Folded Reload
	s_wait_loadcnt 0x1
	scratch_store_b128 off, v[0:3], off offset:1152 ; 16-byte Folded Spill
	ds_load_b128 v[0:3], v253 offset:2048
	s_wait_dscnt 0x0
	scratch_store_b128 off, v[0:3], off offset:1056 ; 16-byte Folded Spill
	ds_load_b128 v[0:3], v253 offset:2560
	s_wait_dscnt 0x0
	scratch_store_b128 off, v[0:3], off offset:1360 ; 16-byte Folded Spill
	s_clause 0x1
	scratch_load_b128 v[0:3], off, off offset:128
	scratch_load_b128 v[4:7], off, off offset:144
	s_wait_loadcnt 0x0
	v_wmma_f32_16x16x16_f16 v[0:7], v[149:152], v[25:28], v[0:7]
	s_clause 0x1
	scratch_store_b128 off, v[0:3], off offset:128
	scratch_store_b128 off, v[4:7], off offset:144
	ds_load_b128 v[0:3], v253 offset:3584
	ds_store_b128 v8, v[73:76] offset:48
	scratch_load_b32 v8, off, off offset:1556 ; 4-byte Folded Reload
	ds_store_b128 v77, v[53:56] offset:16384
	v_wmma_f32_16x16x16_f16 v[89:96], v[69:72], v[25:28], v[89:96]
	s_delay_alu instid0(VALU_DEP_1) | instskip(NEXT) | instid1(VALU_DEP_2)
	v_dual_mov_b32 v200, v96 :: v_dual_mov_b32 v199, v95
	v_dual_mov_b32 v198, v94 :: v_dual_mov_b32 v197, v93
	s_delay_alu instid0(VALU_DEP_3) | instskip(NEXT) | instid1(VALU_DEP_4)
	v_dual_mov_b32 v196, v92 :: v_dual_mov_b32 v195, v91
	v_dual_mov_b32 v194, v90 :: v_dual_mov_b32 v193, v89
	s_wait_dscnt 0x2
	scratch_store_b128 off, v[0:3], off offset:896 ; 16-byte Folded Spill
	s_clause 0x1
	scratch_load_b128 v[0:3], off, off offset:32
	scratch_load_b128 v[4:7], off, off offset:48
	s_wait_loadcnt 0x2
	v_add_nc_u32_e32 v53, v8, v88
	s_clause 0x1
	scratch_load_b128 v[86:89], off, off offset:64
	scratch_load_b128 v[90:93], off, off offset:80
	buffer_load_b128 v[53:56], v53, s[12:15], null offen
	s_wait_loadcnt 0x1
	v_wmma_f32_16x16x16_f16 v[86:93], v[145:148], v[25:28], v[86:93]
	s_clause 0x1
	scratch_store_b128 off, v[86:89], off offset:64
	scratch_store_b128 off, v[90:93], off offset:80
	scratch_load_b128 v[86:89], off, off offset:1040 th:TH_LOAD_LU ; 16-byte Folded Reload
	s_wait_loadcnt 0x0
	v_nop
	v_wmma_f32_16x16x16_f16 v[125:132], v[86:89], v[33:36], v[125:132]
	v_wmma_f32_16x16x16_f16 v[0:7], v[86:89], v[21:24], v[0:7]
	;; [unrolled: 1-line block ×3, first 2 shown]
	scratch_load_b128 v[21:24], off, off offset:992 th:TH_LOAD_LU ; 16-byte Folded Reload
	s_clause 0x1
	scratch_store_b128 off, v[125:128], off offset:224
	scratch_store_b128 off, v[129:132], off offset:240
	s_clause 0x1
	scratch_load_b128 v[125:128], off, off offset:576 th:TH_LOAD_LU
	scratch_load_b128 v[129:132], off, off offset:592 th:TH_LOAD_LU
	s_clause 0x1
	scratch_store_b128 off, v[0:3], off offset:32
	scratch_store_b128 off, v[4:7], off offset:48
	s_wait_loadcnt 0x0
	v_wmma_f32_16x16x16_f16 v[125:132], v[21:24], v[17:20], v[125:132]
	v_wmma_f32_16x16x16_f16 v[97:104], v[149:152], v[29:32], v[97:104]
	s_clause 0x1
	scratch_load_b128 v[145:148], off, off offset:96
	scratch_load_b128 v[149:152], off, off offset:112
	v_dual_mov_b32 v224, v104 :: v_dual_mov_b32 v223, v103
	v_dual_mov_b32 v222, v102 :: v_dual_mov_b32 v221, v101
	;; [unrolled: 1-line block ×5, first 2 shown]
	v_mov_b32_e32 v102, v106
	s_clause 0x1
	scratch_load_b128 v[94:97], off, off offset:480 th:TH_LOAD_LU
	scratch_load_b128 v[98:101], off, off offset:496 th:TH_LOAD_LU
	s_wait_loadcnt 0x2
	v_wmma_f32_16x16x16_f16 v[145:152], v[86:89], v[29:32], v[145:152]
	s_clause 0x1
	scratch_store_b128 off, v[145:148], off offset:96
	scratch_store_b128 off, v[149:152], off offset:112
	s_clause 0x1
	scratch_load_b128 v[145:148], off, off offset:544 th:TH_LOAD_LU
	scratch_load_b128 v[149:152], off, off offset:560 th:TH_LOAD_LU
	s_wait_loadcnt 0x0
	v_wmma_f32_16x16x16_f16 v[145:152], v[21:24], v[9:12], v[145:152]
	v_wmma_f32_16x16x16_f16 v[233:240], v[21:24], v[13:16], v[233:240]
	;; [unrolled: 1-line block ×3, first 2 shown]
	scratch_load_b128 v[21:24], off, off offset:1024 th:TH_LOAD_LU ; 16-byte Folded Reload
	s_wait_loadcnt 0x0
	v_wmma_f32_16x16x16_f16 v[113:120], v[21:24], v[9:12], v[113:120]
	s_clause 0x1
	scratch_store_b128 off, v[113:116], off offset:512
	scratch_store_b128 off, v[117:120], off offset:528
	ds_load_b128 v[113:116], v253 offset:11776
	v_wmma_f32_16x16x16_f16 v[245:252], v[69:72], v[29:32], v[245:252]
	scratch_load_b128 v[29:32], off, off offset:1008 th:TH_LOAD_LU ; 16-byte Folded Reload
	v_dual_mov_b32 v185, v245 :: v_dual_mov_b32 v186, v246
	v_dual_mov_b32 v187, v247 :: v_dual_mov_b32 v188, v248
	v_dual_mov_b32 v189, v249 :: v_dual_mov_b32 v190, v250
	v_dual_mov_b32 v191, v251 :: v_dual_mov_b32 v192, v252
	s_clause 0x2
	scratch_load_b128 v[241:244], off, off offset:160
	scratch_load_b128 v[249:252], off, off offset:1088 th:TH_LOAD_LU
	scratch_load_b128 v[245:248], off, off offset:176
	s_wait_loadcnt 0x0
	v_wmma_f32_16x16x16_f16 v[241:248], v[249:252], v[141:144], v[241:248]
	s_clause 0x1
	scratch_store_b128 off, v[241:244], off offset:160
	scratch_store_b128 off, v[245:248], off offset:176
	scratch_load_b128 v[241:244], off, off offset:976 th:TH_LOAD_LU ; 16-byte Folded Reload
	s_wait_loadcnt 0x0
	v_nop
	v_wmma_f32_16x16x16_f16 v[193:200], v[241:244], v[9:12], v[193:200]
	ds_load_b128 v[0:3], v253 offset:8192
	s_wait_dscnt 0x0
	scratch_store_b128 off, v[0:3], off offset:800 ; 16-byte Folded Spill
	ds_load_2addr_stride64_b64 v[0:3], v105 offset0:48 offset1:49
	s_wait_dscnt 0x0
	scratch_store_b128 off, v[0:3], off offset:1392 ; 16-byte Folded Spill
	ds_load_2addr_stride64_b64 v[0:3], v105 offset0:50 offset1:51
	s_wait_dscnt 0x0
	scratch_store_b128 off, v[0:3], off offset:416 ; 16-byte Folded Spill
	ds_load_b128 v[0:3], v253 offset:8704
	s_wait_dscnt 0x0
	scratch_store_b128 off, v[0:3], off offset:1024 ; 16-byte Folded Spill
	s_clause 0x1
	scratch_load_b128 v[0:3], off, off
	scratch_load_b128 v[4:7], off, off offset:16
	s_wait_loadcnt 0x0
	v_wmma_f32_16x16x16_f16 v[0:7], v[249:252], v[13:16], v[0:7]
	s_clause 0x1
	scratch_store_b128 off, v[0:3], off
	scratch_store_b128 off, v[4:7], off offset:16
	ds_load_b128 v[0:3], v253 offset:9216
	s_wait_dscnt 0x0
	scratch_store_b128 off, v[0:3], off offset:1008 ; 16-byte Folded Spill
	ds_load_b128 v[0:3], v253 offset:9728
	s_wait_dscnt 0x0
	scratch_store_b128 off, v[0:3], off offset:1456 ; 16-byte Folded Spill
	;; [unrolled: 3-line block ×3, first 2 shown]
	ds_load_b128 v[0:3], v253 offset:10752
	v_wmma_f32_16x16x16_f16 v[185:192], v[241:244], v[13:16], v[185:192]
	v_wmma_f32_16x16x16_f16 v[225:232], v[69:72], v[33:36], v[225:232]
	s_clause 0x1
	scratch_load_b128 v[69:72], off, off offset:608 th:TH_LOAD_LU
	scratch_load_b128 v[73:76], off, off offset:624 th:TH_LOAD_LU
	s_clause 0x1
	scratch_store_b128 off, v[225:228], off offset:288
	scratch_store_b128 off, v[229:232], off offset:304
	v_dual_mov_b32 v232, v176 :: v_dual_mov_b32 v231, v175
	v_dual_mov_b32 v230, v174 :: v_dual_mov_b32 v229, v173
	;; [unrolled: 1-line block ×4, first 2 shown]
	s_wait_dscnt 0x0
	scratch_store_b128 off, v[0:3], off offset:1424 ; 16-byte Folded Spill
	v_wmma_f32_16x16x16_f16 v[225:232], v[241:244], v[141:144], v[225:232]
	v_wmma_f32_16x16x16_f16 v[153:160], v[86:89], v[25:28], v[153:160]
	s_clause 0x3
	scratch_load_b128 v[86:89], off, off offset:288
	scratch_load_b128 v[90:93], off, off offset:304
	;; [unrolled: 1-line block ×4, first 2 shown]
	s_clause 0x1
	scratch_store_b128 off, v[153:156], off offset:192
	scratch_store_b128 off, v[157:160], off offset:208
	s_clause 0x1
	scratch_load_b128 v[153:156], off, off offset:736 th:TH_LOAD_LU
	scratch_load_b128 v[157:160], off, off offset:752 th:TH_LOAD_LU
	v_add_nc_u32_e32 v25, v8, v103
	buffer_load_b128 v[25:28], v25, s[12:15], null offen
	s_wait_loadcnt 0x5
	v_wmma_f32_16x16x16_f16 v[86:93], v[241:244], v[17:20], v[86:93]
	scratch_load_b128 v[241:244], off, off offset:960 th:TH_LOAD_LU ; 16-byte Folded Reload
	s_clause 0x1
	scratch_store_b128 off, v[86:89], off offset:288
	scratch_store_b128 off, v[90:93], off offset:304
	s_clause 0x1
	scratch_load_b128 v[86:89], off, off offset:256
	scratch_load_b128 v[90:93], off, off offset:272
	s_wait_loadcnt 0x2
	v_wmma_f32_16x16x16_f16 v[0:7], v[241:244], v[9:12], v[0:7]
	s_clause 0x1
	scratch_store_b128 off, v[0:3], off offset:128
	scratch_store_b128 off, v[4:7], off offset:144
	ds_load_b128 v[0:3], v253 offset:11264
	s_wait_loadcnt 0x0
	v_wmma_f32_16x16x16_f16 v[86:93], v[241:244], v[17:20], v[86:93]
	v_wmma_f32_16x16x16_f16 v[201:208], v[241:244], v[141:144], v[201:208]
	v_wmma_f32_16x16x16_f16 v[217:224], v[241:244], v[13:16], v[217:224]
	scratch_load_b128 v[241:244], off, off offset:944 th:TH_LOAD_LU ; 16-byte Folded Reload
	; sched_group_barrier mask(0x00000100) size(2) SyncID(0)
	; sched_group_barrier mask(0x00000008) size(1) SyncID(0)
	;; [unrolled: 1-line block ×8, first 2 shown]
	s_clause 0x1
	scratch_store_b128 off, v[86:89], off offset:256
	scratch_store_b128 off, v[90:93], off offset:272
	s_clause 0x1
	scratch_load_b128 v[86:89], off, off offset:320
	scratch_load_b128 v[90:93], off, off offset:336
	s_wait_dscnt 0x0
	scratch_store_b128 off, v[0:3], off offset:1440 ; 16-byte Folded Spill
	s_clause 0x1
	scratch_load_b128 v[0:3], off, off offset:352
	scratch_load_b128 v[4:7], off, off offset:368
	s_wait_loadcnt 0x2
	v_wmma_f32_16x16x16_f16 v[86:93], v[241:244], v[13:16], v[86:93]
	s_clause 0x1
	scratch_store_b128 off, v[86:89], off offset:320
	scratch_store_b128 off, v[90:93], off offset:336
	s_clause 0x1
	scratch_load_b128 v[86:89], off, off offset:384
	scratch_load_b128 v[90:93], off, off offset:400
	s_wait_loadcnt 0x0
	v_wmma_f32_16x16x16_f16 v[86:93], v[241:244], v[17:20], v[86:93]
	; sched_group_barrier mask(0x00000008) size(1) SyncID(0)
	; sched_group_barrier mask(0x00000200) size(1) SyncID(0)
	s_clause 0x1
	scratch_store_b128 off, v[86:89], off offset:384
	scratch_store_b128 off, v[90:93], off offset:400
	s_clause 0x1
	scratch_load_b128 v[86:89], off, off offset:64
	scratch_load_b128 v[90:93], off, off offset:80
	s_wait_loadcnt 0x0
	v_wmma_f32_16x16x16_f16 v[86:93], v[241:244], v[9:12], v[86:93]
	v_wmma_f32_16x16x16_f16 v[0:7], v[241:244], v[141:144], v[0:7]
	scratch_load_b128 v[241:244], off, off offset:928 th:TH_LOAD_LU ; 16-byte Folded Reload
	ds_load_2addr_stride64_b64 v[121:124], v105 offset0:34 offset1:35
	v_wmma_f32_16x16x16_f16 v[69:76], v[249:252], v[17:20], v[69:76]
	s_clause 0x1
	scratch_store_b128 off, v[86:89], off offset:64
	scratch_store_b128 off, v[90:93], off offset:80
	s_clause 0x1
	scratch_load_b128 v[86:89], off, off offset:96
	scratch_load_b128 v[90:93], off, off offset:112
	v_wmma_f32_16x16x16_f16 v[61:68], v[249:252], v[9:12], v[61:68]
	ds_load_2addr_stride64_b64 v[209:212], v105 offset0:38 offset1:39
	ds_store_b128 v77, v[41:44] offset:16432
	ds_load_2addr_stride64_b64 v[33:36], v105 offset0:52 offset1:53
	ds_load_2addr_stride64_b64 v[109:112], v105 offset0:36 offset1:37
	;; [unrolled: 1-line block ×3, first 2 shown]
	v_wmma_f32_16x16x16_f16 v[133:140], v[29:32], v[9:12], v[133:140]
	ds_store_b128 v77, v[37:40] offset:16416
	v_wmma_f32_16x16x16_f16 v[177:184], v[29:32], v[17:20], v[177:184]
	v_wmma_f32_16x16x16_f16 v[78:85], v[29:32], v[13:16], v[78:85]
	v_add_nc_u32_e32 v41, v8, v104
	s_clause 0x3
	scratch_store_b128 off, v[0:3], off offset:352
	scratch_store_b128 off, v[4:7], off offset:368
	; sched_group_barrier mask(0x00000008) size(1) SyncID(0)
	; sched_group_barrier mask(0x00000020) size(1) SyncID(0)
	;; [unrolled: 1-line block ×24, first 2 shown]
	scratch_store_b128 off, v[78:81], off offset:640
	scratch_store_b128 off, v[82:85], off offset:656
	s_clause 0x1
	scratch_load_b128 v[78:81], off, off offset:704 th:TH_LOAD_LU
	scratch_load_b128 v[82:85], off, off offset:720 th:TH_LOAD_LU
	buffer_load_b128 v[41:44], v41, s[12:15], null offen
	s_wait_loadcnt 0x3
	v_wmma_f32_16x16x16_f16 v[86:93], v[241:244], v[13:16], v[86:93]
	s_clause 0x1
	scratch_store_b128 off, v[86:89], off offset:96
	scratch_store_b128 off, v[90:93], off offset:112
	s_clause 0x1
	scratch_load_b128 v[86:89], off, off offset:32
	scratch_load_b128 v[90:93], off, off offset:48
	s_wait_loadcnt 0x3
	v_wmma_f32_16x16x16_f16 v[78:85], v[29:32], v[141:144], v[78:85]
	v_wmma_f32_16x16x16_f16 v[94:101], v[21:24], v[17:20], v[94:101]
	;; [unrolled: 1-line block ×3, first 2 shown]
	ds_load_b128 v[45:48], v253 offset:512
	; sched_group_barrier mask(0x00000008) size(1) SyncID(0)
	; sched_group_barrier mask(0x00000100) size(2) SyncID(0)
	;; [unrolled: 1-line block ×9, first 2 shown]
	s_wait_dscnt 0x0
	scratch_store_b128 off, v[45:48], off offset:1376 ; 16-byte Folded Spill
	v_dual_mov_b32 v45, v233 :: v_dual_mov_b32 v46, v234
	v_dual_mov_b32 v47, v235 :: v_dual_mov_b32 v48, v236
	;; [unrolled: 1-line block ×4, first 2 shown]
	s_clause 0x1
	scratch_load_b128 v[233:236], off, off offset:448 th:TH_LOAD_LU
	scratch_load_b128 v[237:240], off, off offset:464 th:TH_LOAD_LU
	s_wait_loadcnt 0x2
	v_wmma_f32_16x16x16_f16 v[86:93], v[241:244], v[141:144], v[86:93]
	s_clause 0x1
	scratch_store_b128 off, v[86:89], off offset:32
	scratch_store_b128 off, v[90:93], off offset:48
	s_clause 0x1
	scratch_load_b128 v[86:89], off, off offset:224
	scratch_load_b128 v[90:93], off, off offset:240
	s_wait_loadcnt 0x2
	v_wmma_f32_16x16x16_f16 v[233:240], v[21:24], v[13:16], v[233:240]
	ds_store_b128 v77, v[57:60] offset:16400
	v_add_nc_u32_e32 v57, v8, v102
	; sched_group_barrier mask(0x00000008) size(1) SyncID(0)
	; sched_group_barrier mask(0x00000200) size(1) SyncID(0)
	;; [unrolled: 1-line block ×33, first 2 shown]
	buffer_load_b128 v[57:60], v57, s[12:15], null offen
	s_wait_loadcnt 0x1
	v_wmma_f32_16x16x16_f16 v[86:93], v[241:244], v[17:20], v[86:93]
	s_clause 0x1
	scratch_load_b128 v[13:16], off, off offset:192
	scratch_load_b128 v[17:20], off, off offset:208
	s_clause 0x1
	scratch_store_b128 off, v[86:89], off offset:224
	scratch_store_b128 off, v[90:93], off offset:240
	s_wait_loadcnt 0x0
	v_wmma_f32_16x16x16_f16 v[13:20], v[241:244], v[9:12], v[13:20]
	s_clause 0x1
	scratch_store_b128 off, v[13:16], off offset:192
	scratch_store_b128 off, v[17:20], off offset:208
	; sched_barrier mask(0x00000000)
	scratch_load_b128 v[0:3], off, off offset:1328 th:TH_LOAD_LU ; 16-byte Folded Reload
	s_wait_dscnt 0x0
	s_barrier_signal -1
	s_barrier_wait -1
	scratch_load_b128 v[241:244], off, off offset:160 ; 16-byte Folded Reload
	v_perm_b32 v9, v57, v53, 0x5040100
	v_perm_b32 v11, v57, v53, 0x7060302
	;; [unrolled: 1-line block ×8, first 2 shown]
	s_clause 0x2
	scratch_load_b128 v[37:40], off, off offset:1344 th:TH_LOAD_LU
	scratch_load_b128 v[245:248], off, off offset:176
	scratch_load_b128 v[53:56], off, off offset:1056 th:TH_LOAD_LU
	v_perm_b32 v10, v41, v25, 0x5040100
	v_perm_b32 v12, v41, v25, 0x7060302
	;; [unrolled: 1-line block ×8, first 2 shown]
	v_dual_mov_b32 v27, v109 :: v_dual_mov_b32 v28, v110
	v_dual_mov_b32 v57, v121 :: v_dual_mov_b32 v58, v122
	;; [unrolled: 1-line block ×4, first 2 shown]
	s_clause 0x3
	scratch_load_b32 v144, off, off offset:1560
	scratch_load_b32 v141, off, off offset:1104
	;; [unrolled: 1-line block ×4, first 2 shown]
	s_wait_loadcnt 0x8
	v_dual_mov_b32 v25, v0 :: v_dual_mov_b32 v26, v1
	v_dual_mov_b32 v109, v2 :: v_dual_mov_b32 v110, v3
	s_wait_loadcnt 0x6
	v_wmma_f32_16x16x16_f16 v[69:76], v[37:40], v[57:60], v[69:76]
	s_wait_loadcnt 0x5
	s_delay_alu instid0(VALU_DEP_2)
	v_wmma_f32_16x16x16_f16 v[241:248], v[37:40], v[109:112], v[241:248]
	s_wait_loadcnt 0x4
	v_wmma_f32_16x16x16_f16 v[185:192], v[53:56], v[25:28], v[185:192]
	ds_load_b128 v[4:7], v254
	v_wmma_f32_16x16x16_f16 v[225:232], v[53:56], v[109:112], v[225:232]
	v_wmma_f32_16x16x16_f16 v[193:200], v[53:56], v[209:212], v[193:200]
	scratch_load_b128 v[0:3], off, off offset:768 th:TH_LOAD_LU ; 16-byte Folded Reload
	s_clause 0x1
	scratch_store_b128 off, v[241:244], off offset:160
	scratch_store_b128 off, v[245:248], off offset:176
	v_dual_mov_b32 v248, v76 :: v_dual_mov_b32 v247, v75
	v_dual_mov_b32 v246, v74 :: v_dual_mov_b32 v245, v73
	v_dual_mov_b32 v244, v72 :: v_dual_mov_b32 v243, v71
	v_dual_mov_b32 v242, v70 :: v_dual_mov_b32 v241, v69
	v_dual_mov_b32 v69, v193 :: v_dual_mov_b32 v70, v194
	v_dual_mov_b32 v71, v195 :: v_dual_mov_b32 v72, v196
	v_dual_mov_b32 v73, v197 :: v_dual_mov_b32 v74, v198
	s_wait_dscnt 0x0
	scratch_store_b128 off, v[4:7], off offset:1488 ; 16-byte Folded Spill
	v_dual_mov_b32 v75, v199 :: v_dual_mov_b32 v76, v200
	s_wait_loadcnt 0x0
	v_wmma_f32_16x16x16_f16 v[45:52], v[0:3], v[25:28], v[45:52]
	v_wmma_f32_16x16x16_f16 v[161:168], v[0:3], v[109:112], v[161:168]
	;; [unrolled: 1-line block ×4, first 2 shown]
	scratch_load_b32 v77, off, off offset:1548 ; 4-byte Folded Reload
	v_dual_mov_b32 v117, v125 :: v_dual_mov_b32 v118, v126
	v_dual_mov_b32 v119, v127 :: v_dual_mov_b32 v120, v128
	;; [unrolled: 1-line block ×8, first 2 shown]
	s_clause 0x1
	scratch_load_b128 v[145:148], off, off offset:640 th:TH_LOAD_LU
	scratch_load_b128 v[149:152], off, off offset:656 th:TH_LOAD_LU
	s_wait_loadcnt 0x2
	ds_load_2addr_stride64_b64 v[4:7], v77 offset0:32 offset1:33
	ds_load_2addr_stride64_b64 v[21:24], v77 offset0:36 offset1:37
	scratch_load_b32 v41, off, off offset:1564 ; 4-byte Folded Reload
	s_wait_dscnt 0x1
	scratch_store_b128 off, v[4:7], off offset:1504 ; 16-byte Folded Spill
	scratch_load_b128 v[4:7], off, off offset:1296 th:TH_LOAD_LU ; 16-byte Folded Reload
	s_wait_dscnt 0x0
	scratch_store_b128 off, v[21:24], off offset:1296 ; 16-byte Folded Spill
	ds_load_2addr_stride64_b64 v[21:24], v77 offset0:34 offset1:35
	s_wait_loadcnt 0x0
	ds_store_b128 v41, v[4:7]
	scratch_load_b32 v4, off, off offset:1280 th:TH_LOAD_LU ; 4-byte Folded Reload
	s_wait_dscnt 0x1
	scratch_store_b128 off, v[21:24], off offset:1280 ; 16-byte Folded Spill
	s_wait_loadcnt 0x0
	buffer_load_b128 v[4:7], v4, s[8:11], null offen offset:256
	scratch_load_b128 v[0:3], off, off offset:1376 th:TH_LOAD_LU ; 16-byte Folded Reload
	s_wait_loadcnt 0x1
	scratch_store_b128 off, v[4:7], off offset:1520 ; 16-byte Folded Spill
	s_wait_loadcnt 0x0
	v_mov_b32_e32 v7, v3
	v_wmma_f32_16x16x16_f16 v[233:240], v[0:3], v[25:28], v[233:240]
	v_wmma_f32_16x16x16_f16 v[153:160], v[0:3], v[109:112], v[153:160]
	;; [unrolled: 1-line block ×3, first 2 shown]
	v_dual_mov_b32 v6, v2 :: v_dual_mov_b32 v5, v1
	v_mov_b32_e32 v4, v0
	scratch_load_b128 v[0:3], off, off offset:1312 th:TH_LOAD_LU ; 16-byte Folded Reload
	v_dual_mov_b32 v176, v160 :: v_dual_mov_b32 v175, v159
	v_dual_mov_b32 v174, v158 :: v_dual_mov_b32 v173, v157
	;; [unrolled: 1-line block ×8, first 2 shown]
	s_wait_loadcnt 0x0
	ds_store_b128 v41, v[0:3] offset:16
	s_clause 0x1
	scratch_load_b128 v[153:156], off, off offset:512 th:TH_LOAD_LU
	scratch_load_b128 v[157:160], off, off offset:528 th:TH_LOAD_LU
	s_wait_loadcnt 0x0
	v_wmma_f32_16x16x16_f16 v[153:160], v[4:7], v[209:212], v[153:160]
	scratch_load_b32 v0, off, off offset:1168 th:TH_LOAD_LU ; 4-byte Folded Reload
	s_wait_loadcnt 0x0
	buffer_load_b128 v[21:24], v0, s[8:11], null offen offset:256
	scratch_load_b128 v[0:3], off, off offset:1408 th:TH_LOAD_LU ; 16-byte Folded Reload
	s_wait_loadcnt 0x1
	scratch_store_b128 off, v[21:24], off offset:1168 ; 16-byte Folded Spill
	s_wait_loadcnt 0x0
	v_mov_b32_e32 v32, v3
	v_wmma_f32_16x16x16_f16 v[177:184], v[0:3], v[57:60], v[177:184]
	v_wmma_f32_16x16x16_f16 v[145:152], v[0:3], v[25:28], v[145:152]
	;; [unrolled: 1-line block ×3, first 2 shown]
	v_dual_mov_b32 v31, v2 :: v_dual_mov_b32 v30, v1
	v_dual_mov_b32 v29, v0 :: v_dual_mov_b32 v0, v133
	;; [unrolled: 1-line block ×5, first 2 shown]
	v_mov_b32_e32 v7, v140
	s_clause 0x1
	scratch_load_b128 v[133:136], off, off
	scratch_load_b128 v[137:140], off, off offset:16
	v_wmma_f32_16x16x16_f16 v[0:7], v[29:32], v[209:212], v[0:7]
	scratch_load_b128 v[29:32], off, off offset:1184 th:TH_LOAD_LU ; 16-byte Folded Reload
	s_wait_loadcnt 0x0
	ds_store_b128 v41, v[29:32] offset:32
	scratch_load_b32 v29, off, off offset:864 th:TH_LOAD_LU ; 4-byte Folded Reload
	s_wait_loadcnt 0x0
	buffer_load_b128 v[29:32], v29, s[8:11], null offen offset:256
	s_wait_loadcnt 0x0
	scratch_store_b128 off, v[29:32], off offset:1184 ; 16-byte Folded Spill
	ds_load_b128 v[29:32], v254 offset:1024
	s_wait_dscnt 0x0
	scratch_store_b128 off, v[29:32], off offset:1376 ; 16-byte Folded Spill
	ds_load_b128 v[29:32], v254 offset:1536
	s_wait_dscnt 0x0
	scratch_store_b128 off, v[29:32], off offset:1344 ; 16-byte Folded Spill
	scratch_load_b128 v[29:32], off, off offset:1152 th:TH_LOAD_LU ; 16-byte Folded Reload
	s_wait_loadcnt 0x0
	ds_store_b128 v41, v[29:32] offset:48
	scratch_load_b32 v29, off, off offset:832 th:TH_LOAD_LU ; 4-byte Folded Reload
	ds_store_b128 v144, v[13:16] offset:16400
	ds_store_b128 v144, v[9:12] offset:16384
	v_add_nc_u32_e32 v9, v8, v141
	buffer_load_b128 v[237:240], v9, s[12:15], null offen
	ds_load_b128 v[9:12], v254 offset:3584
	s_wait_dscnt 0x0
	scratch_store_b128 off, v[9:12], off offset:1040 ; 16-byte Folded Spill
	s_clause 0x1
	scratch_load_b128 v[9:12], off, off offset:64
	scratch_load_b128 v[13:16], off, off offset:80
	s_wait_loadcnt 0x3
	buffer_load_b128 v[41:44], v29, s[8:11], null offen
	scratch_load_b128 v[29:32], off, off offset:1360 th:TH_LOAD_LU ; 16-byte Folded Reload
	s_wait_loadcnt 0x1
	scratch_store_b128 off, v[41:44], off offset:1152 ; 16-byte Folded Spill
	s_wait_loadcnt 0x0
	v_wmma_f32_16x16x16_f16 v[201:208], v[29:32], v[109:112], v[201:208]
	v_wmma_f32_16x16x16_f16 v[133:140], v[37:40], v[25:28], v[133:140]
	s_clause 0x1
	scratch_store_b128 off, v[133:136], off
	scratch_store_b128 off, v[137:140], off offset:16
	v_dual_mov_b32 v140, v68 :: v_dual_mov_b32 v139, v67
	v_dual_mov_b32 v138, v66 :: v_dual_mov_b32 v137, v65
	;; [unrolled: 1-line block ×4, first 2 shown]
	s_clause 0x1
	scratch_load_b128 v[61:64], off, off offset:256
	scratch_load_b128 v[65:68], off, off offset:272
	s_wait_loadcnt 0x0
	v_wmma_f32_16x16x16_f16 v[61:68], v[29:32], v[57:60], v[61:68]
	s_clause 0x1
	scratch_store_b128 off, v[61:64], off offset:256
	scratch_store_b128 off, v[65:68], off offset:272
	s_clause 0x1
	scratch_load_b128 v[61:64], off, off offset:128
	scratch_load_b128 v[65:68], off, off offset:144
	s_wait_loadcnt 0x0
	v_wmma_f32_16x16x16_f16 v[61:68], v[29:32], v[209:212], v[61:68]
	v_wmma_f32_16x16x16_f16 v[9:16], v[213:216], v[209:212], v[9:16]
	;; [unrolled: 1-line block ×3, first 2 shown]
	scratch_load_b128 v[29:32], off, off offset:896 th:TH_LOAD_LU ; 16-byte Folded Reload
	s_clause 0x2
	scratch_store_b128 off, v[61:64], off offset:128
	scratch_store_b128 off, v[9:12], off offset:64
	;; [unrolled: 1-line block ×3, first 2 shown]
	v_add_nc_u32_e32 v9, v8, v143
	scratch_store_b128 off, v[65:68], off offset:144 ; 16-byte Folded Spill
	s_clause 0x1
	scratch_load_b128 v[61:64], off, off offset:320
	scratch_load_b128 v[65:68], off, off offset:336
	v_mov_b32_e32 v193, v217
	buffer_load_b128 v[233:236], v9, s[12:15], null offen
	s_clause 0x1
	scratch_load_b128 v[9:12], off, off offset:96
	scratch_load_b128 v[13:16], off, off offset:112
	v_dual_mov_b32 v194, v218 :: v_dual_mov_b32 v195, v219
	v_dual_mov_b32 v196, v220 :: v_dual_mov_b32 v197, v221
	;; [unrolled: 1-line block ×3, first 2 shown]
	v_mov_b32_e32 v200, v224
	s_wait_loadcnt 0x0
	v_wmma_f32_16x16x16_f16 v[9:16], v[29:32], v[25:28], v[9:16]
	s_clause 0x1
	scratch_store_b128 off, v[9:12], off offset:96
	scratch_store_b128 off, v[13:16], off offset:112
	s_clause 0x1
	scratch_load_b128 v[9:12], off, off offset:32
	scratch_load_b128 v[13:16], off, off offset:48
	s_wait_loadcnt 0x0
	v_wmma_f32_16x16x16_f16 v[9:16], v[29:32], v[109:112], v[9:16]
	s_clause 0x1
	scratch_store_b128 off, v[9:12], off offset:32
	scratch_store_b128 off, v[13:16], off offset:48
	s_clause 0x1
	scratch_load_b128 v[9:12], off, off offset:224
	scratch_load_b128 v[13:16], off, off offset:240
	s_wait_loadcnt 0x0
	v_wmma_f32_16x16x16_f16 v[9:16], v[29:32], v[57:60], v[9:16]
	s_clause 0x1
	scratch_store_b128 off, v[9:12], off offset:224
	scratch_store_b128 off, v[13:16], off offset:240
	ds_load_b128 v[9:12], v254 offset:8192
	s_wait_dscnt 0x0
	scratch_store_b128 off, v[9:12], off offset:992 ; 16-byte Folded Spill
	s_clause 0x1
	scratch_load_b128 v[9:12], off, off offset:192
	scratch_load_b128 v[13:16], off, off offset:208
	s_wait_loadcnt 0x0
	v_wmma_f32_16x16x16_f16 v[9:16], v[29:32], v[209:212], v[9:16]
	v_wmma_f32_16x16x16_f16 v[61:68], v[213:216], v[25:28], v[61:68]
	v_dual_mov_b32 v25, v86 :: v_dual_mov_b32 v26, v87
	v_mov_b32_e32 v27, v88
	s_clause 0x1
	scratch_store_b128 off, v[9:12], off offset:192
	scratch_store_b128 off, v[13:16], off offset:208
	scratch_load_b128 v[11:14], off, off offset:1392 th:TH_LOAD_LU ; 16-byte Folded Reload
	v_dual_mov_b32 v28, v89 :: v_dual_mov_b32 v29, v90
	v_dual_mov_b32 v30, v91 :: v_dual_mov_b32 v31, v92
	v_mov_b32_e32 v32, v93
	scratch_load_b128 v[86:89], off, off offset:1024 th:TH_LOAD_LU ; 16-byte Folded Reload
	s_clause 0x1
	scratch_store_b128 off, v[61:64], off offset:320
	scratch_store_b128 off, v[65:68], off offset:336
	s_clause 0x1
	scratch_load_b128 v[61:64], off, off offset:352
	scratch_load_b128 v[65:68], off, off offset:368
	s_wait_loadcnt 0x3
	v_dual_mov_b32 v9, v11 :: v_dual_mov_b32 v10, v12
	v_dual_mov_b32 v11, v33 :: v_dual_mov_b32 v12, v34
	;; [unrolled: 1-line block ×3, first 2 shown]
	s_wait_loadcnt 0x2
	s_delay_alu instid0(VALU_DEP_1)
	v_wmma_f32_16x16x16_f16 v[169:176], v[86:89], v[33:36], v[169:176]
	ds_store_b128 v144, v[17:20] offset:16416
	scratch_load_b128 v[15:18], off, off offset:416 th:TH_LOAD_LU ; 16-byte Folded Reload
	s_clause 0x1
	scratch_store_b128 off, v[169:172], off offset:736
	scratch_store_b128 off, v[173:176], off offset:752
	scratch_load_b128 v[173:176], off, off offset:1504 ; 16-byte Folded Reload
	s_wait_loadcnt 0x1
	v_dual_mov_b32 v13, v15 :: v_dual_mov_b32 v14, v16
	v_dual_mov_b32 v15, v105 :: v_dual_mov_b32 v16, v106
	;; [unrolled: 1-line block ×3, first 2 shown]
	v_add_nc_u32_e32 v17, v8, v142
	s_delay_alu instid0(VALU_DEP_3) | instskip(NEXT) | instid1(VALU_DEP_3)
	v_wmma_f32_16x16x16_f16 v[94:101], v[86:89], v[13:16], v[94:101]
	v_wmma_f32_16x16x16_f16 v[153:160], v[86:89], v[105:108], v[153:160]
	;; [unrolled: 1-line block ×3, first 2 shown]
	scratch_load_b128 v[86:89], off, off offset:1008 th:TH_LOAD_LU ; 16-byte Folded Reload
	s_clause 0x1
	scratch_store_b128 off, v[94:97], off offset:480
	scratch_store_b128 off, v[98:101], off offset:496
	v_mov_b32_e32 v94, v225
	s_clause 0x1
	scratch_store_b128 off, v[25:28], off offset:448
	scratch_store_b128 off, v[29:32], off offset:464
	scratch_load_b128 v[25:28], off, off offset:1456 th:TH_LOAD_LU ; 16-byte Folded Reload
	v_dual_mov_b32 v95, v226 :: v_dual_mov_b32 v96, v227
	v_dual_mov_b32 v97, v228 :: v_dual_mov_b32 v98, v229
	;; [unrolled: 1-line block ×3, first 2 shown]
	v_mov_b32_e32 v101, v232
	s_clause 0x1
	scratch_store_b128 off, v[153:156], off offset:512
	scratch_store_b128 off, v[157:160], off offset:528
	s_clause 0x1
	scratch_load_b128 v[153:156], off, off offset:192 th:TH_LOAD_LU
	scratch_load_b128 v[157:160], off, off offset:208 th:TH_LOAD_LU
	s_wait_loadcnt 0x3
	v_wmma_f32_16x16x16_f16 v[0:7], v[86:89], v[105:108], v[0:7]
	s_clause 0x1
	scratch_store_b128 off, v[0:3], off offset:864
	scratch_store_b128 off, v[4:7], off offset:880
	s_clause 0x1
	scratch_load_b128 v[0:3], off, off
	scratch_load_b128 v[4:7], off, off offset:16
	s_wait_loadcnt 0x2
	v_wmma_f32_16x16x16_f16 v[153:160], v[113:116], v[105:108], v[153:160]
	s_wait_loadcnt 0x0
	v_wmma_f32_16x16x16_f16 v[0:7], v[25:28], v[9:12], v[0:7]
	s_clause 0x1
	scratch_store_b128 off, v[0:3], off
	scratch_store_b128 off, v[4:7], off offset:16
	ds_load_b128 v[0:3], v254 offset:9728
	v_wmma_f32_16x16x16_f16 v[133:140], v[37:40], v[209:212], v[133:140]
	s_clause 0x1
	scratch_load_b128 v[37:40], off, off offset:288
	scratch_load_b128 v[41:44], off, off offset:304
	s_wait_dscnt 0x0
	scratch_store_b128 off, v[0:3], off offset:1088 ; 16-byte Folded Spill
	scratch_load_b32 v0, off, off offset:1232 th:TH_LOAD_LU ; 4-byte Folded Reload
	s_wait_loadcnt 0x1
	v_wmma_f32_16x16x16_f16 v[37:44], v[53:56], v[57:60], v[37:44]
	scratch_load_b128 v[53:56], off, off offset:800 th:TH_LOAD_LU ; 16-byte Folded Reload
	s_clause 0x1
	scratch_store_b128 off, v[37:40], off offset:288
	scratch_store_b128 off, v[41:44], off offset:304
	s_clause 0x1
	scratch_load_b128 v[225:228], off, off offset:288 th:TH_LOAD_LU
	scratch_load_b128 v[229:232], off, off offset:304 th:TH_LOAD_LU
	s_wait_loadcnt 0x2
	v_wmma_f32_16x16x16_f16 v[45:52], v[53:56], v[9:12], v[45:52]
	s_clause 0x1
	scratch_store_b128 off, v[45:48], off offset:768
	scratch_store_b128 off, v[49:52], off offset:784
	buffer_load_b128 v[45:48], v17, s[12:15], null offen
	ds_load_2addr_stride64_b64 v[17:20], v77 offset0:50 offset1:51
	s_wait_dscnt 0x0
	scratch_store_b128 off, v[17:20], off offset:1328 ; 16-byte Folded Spill
	v_add_nc_u32_e32 v17, v8, v255
	v_dual_mov_b32 v1, v133 :: v_dual_mov_b32 v2, v134
	v_dual_mov_b32 v3, v135 :: v_dual_mov_b32 v4, v136
	;; [unrolled: 1-line block ×4, first 2 shown]
	buffer_load_b128 v[49:52], v17, s[12:15], null offen
	v_wmma_f32_16x16x16_f16 v[1:8], v[25:28], v[105:108], v[1:8]
	s_clause 0x1
	scratch_store_b128 off, v[1:4], off offset:896
	scratch_store_b128 off, v[5:8], off offset:912
	scratch_load_b128 v[1:4], off, off offset:1472 th:TH_LOAD_LU ; 16-byte Folded Reload
	s_wait_loadcnt 0x0
	v_nop
	v_wmma_f32_16x16x16_f16 v[94:101], v[1:4], v[33:36], v[94:101]
	v_wmma_f32_16x16x16_f16 v[225:232], v[1:4], v[13:16], v[225:232]
	ds_load_b128 v[17:20], v254 offset:8704
	v_wmma_f32_16x16x16_f16 v[117:124], v[53:56], v[13:16], v[117:124]
	ds_load_2addr_stride64_b64 v[21:24], v77 offset0:38 offset1:39
	v_dual_mov_b32 v8, v4 :: v_dual_mov_b32 v7, v3
	v_mov_b32_e32 v6, v2
	s_clause 0x1
	scratch_store_b128 off, v[117:120], off offset:576
	scratch_store_b128 off, v[121:124], off offset:592
	v_mov_b32_e32 v5, v1
	s_clause 0x1
	scratch_store_b128 off, v[94:97], off offset:800
	scratch_store_b128 off, v[98:101], off offset:816
	s_wait_dscnt 0x1
	scratch_store_b128 off, v[17:20], off offset:1024 ; 16-byte Folded Spill
	s_wait_dscnt 0x0
	scratch_store_b128 off, v[21:24], off offset:1312 ; 16-byte Folded Spill
	ds_load_b128 v[21:24], v254 offset:512
	s_wait_dscnt 0x0
	v_dual_mov_b32 v120, v24 :: v_dual_mov_b32 v119, v23
	v_dual_mov_b32 v118, v22 :: v_dual_mov_b32 v117, v21
	;; [unrolled: 1-line block ×6, first 2 shown]
	s_clause 0x1
	scratch_load_b128 v[185:188], off, off offset:256 th:TH_LOAD_LU
	scratch_load_b128 v[189:192], off, off offset:272 th:TH_LOAD_LU
	v_wmma_f32_16x16x16_f16 v[17:24], v[1:4], v[9:12], v[17:24]
	ds_load_b128 v[1:4], v254 offset:10240
	s_clause 0x1
	scratch_store_b128 off, v[17:20], off offset:832
	scratch_store_b128 off, v[21:24], off offset:848
	scratch_load_b128 v[17:20], off, off offset:1424 th:TH_LOAD_LU ; 16-byte Folded Reload
	s_wait_dscnt 0x0
	scratch_store_b128 off, v[1:4], off offset:976 ; 16-byte Folded Spill
	ds_load_b128 v[1:4], v254 offset:10752
	v_wmma_f32_16x16x16_f16 v[69:76], v[5:8], v[105:108], v[69:76]
	s_delay_alu instid0(VALU_DEP_1) | instskip(NEXT) | instid1(VALU_DEP_2)
	v_dual_mov_b32 v101, v76 :: v_dual_mov_b32 v100, v75
	v_dual_mov_b32 v99, v74 :: v_dual_mov_b32 v98, v73
	s_delay_alu instid0(VALU_DEP_3) | instskip(NEXT) | instid1(VALU_DEP_4)
	v_dual_mov_b32 v97, v72 :: v_dual_mov_b32 v96, v71
	v_dual_mov_b32 v95, v70 :: v_dual_mov_b32 v94, v69
	s_clause 0x1
	scratch_load_b32 v73, off, off offset:1216 th:TH_LOAD_LU
	scratch_load_b32 v72, off, off offset:1200 th:TH_LOAD_LU
	s_wait_dscnt 0x0
	scratch_store_b128 off, v[1:4], off offset:960 ; 16-byte Folded Spill
	s_clause 0x1
	scratch_load_b128 v[1:4], off, off offset:128
	scratch_load_b128 v[5:8], off, off offset:144
	s_wait_loadcnt 0x0
	v_wmma_f32_16x16x16_f16 v[1:8], v[17:20], v[105:108], v[1:8]
	v_wmma_f32_16x16x16_f16 v[61:68], v[213:216], v[109:112], v[61:68]
	s_clause 0x2
	scratch_store_b128 off, v[1:4], off offset:128
	scratch_store_b128 off, v[61:64], off offset:352
	;; [unrolled: 1-line block ×3, first 2 shown]
	s_clause 0x1
	scratch_load_b128 v[217:220], off, off offset:352 th:TH_LOAD_LU
	scratch_load_b128 v[221:224], off, off offset:368 th:TH_LOAD_LU
	scratch_store_b128 off, v[5:8], off offset:144 ; 16-byte Folded Spill
	s_clause 0x2
	scratch_load_b128 v[5:8], off, off offset:1440 th:TH_LOAD_LU
	scratch_load_b128 v[61:64], off, off offset:384
	scratch_load_b128 v[65:68], off, off offset:400
	s_wait_loadcnt 0x2
	v_wmma_f32_16x16x16_f16 v[217:224], v[5:8], v[33:36], v[217:224]
	ds_load_b128 v[1:4], v254 offset:11264
	; sched_group_barrier mask(0x00000008) size(1) SyncID(0)
	s_wait_dscnt 0x0
	scratch_store_b128 off, v[1:4], off offset:944 ; 16-byte Folded Spill
	ds_load_b128 v[1:4], v254 offset:11776
	v_wmma_f32_16x16x16_f16 v[161:168], v[53:56], v[33:36], v[161:168]
	s_wait_loadcnt 0x0
	v_wmma_f32_16x16x16_f16 v[61:68], v[213:216], v[57:60], v[61:68]
	; sched_group_barrier mask(0x00000100) size(2) SyncID(0)
	s_clause 0x3
	scratch_store_b128 off, v[161:164], off offset:416
	scratch_store_b128 off, v[61:64], off offset:384
	;; [unrolled: 1-line block ×4, first 2 shown]
	s_clause 0x3
	scratch_load_b128 v[161:164], off, off offset:384 th:TH_LOAD_LU
	scratch_load_b128 v[165:168], off, off offset:400 th:TH_LOAD_LU
	;; [unrolled: 1-line block ×4, first 2 shown]
	s_wait_dscnt 0x0
	scratch_store_b128 off, v[1:4], off offset:928 ; 16-byte Folded Spill
	scratch_load_b128 v[1:4], off, off offset:1376 ; 16-byte Folded Reload
	s_wait_loadcnt 0x3
	v_wmma_f32_16x16x16_f16 v[161:168], v[5:8], v[13:16], v[161:168]
	v_wmma_f32_16x16x16_f16 v[201:208], v[17:20], v[33:36], v[201:208]
	;; [unrolled: 1-line block ×4, first 2 shown]
	s_clause 0x1
	scratch_load_b128 v[17:20], off, off offset:64
	scratch_load_b128 v[21:24], off, off offset:80
	; sched_group_barrier mask(0x00000008) size(1) SyncID(0)
	; sched_group_barrier mask(0x00000200) size(1) SyncID(0)
	s_wait_loadcnt 0x0
	v_wmma_f32_16x16x16_f16 v[17:24], v[5:8], v[105:108], v[17:24]
	v_wmma_f32_16x16x16_f16 v[177:184], v[86:89], v[13:16], v[177:184]
	; sched_group_barrier mask(0x00000008) size(1) SyncID(0)
	; sched_group_barrier mask(0x00000020) size(1) SyncID(0)
	;; [unrolled: 1-line block ×14, first 2 shown]
	s_clause 0x2
	scratch_store_b128 off, v[17:20], off offset:64
	scratch_store_b128 off, v[177:180], off offset:672
	;; [unrolled: 1-line block ×3, first 2 shown]
	s_clause 0x1
	scratch_load_b128 v[177:180], off, off offset:320 th:TH_LOAD_LU
	scratch_load_b128 v[181:184], off, off offset:336 th:TH_LOAD_LU
	scratch_store_b128 off, v[21:24], off offset:80 ; 16-byte Folded Spill
	s_clause 0x1
	scratch_load_b128 v[17:20], off, off offset:96
	scratch_load_b128 v[21:24], off, off offset:112
	s_wait_loadcnt 0x2
	v_wmma_f32_16x16x16_f16 v[177:184], v[5:8], v[9:12], v[177:184]
	v_wmma_f32_16x16x16_f16 v[241:248], v[25:28], v[13:16], v[241:248]
	;; [unrolled: 1-line block ×4, first 2 shown]
	ds_load_b128 v[86:89], v254 offset:9216
	ds_store_b128 v144, v[249:252] offset:16432
	v_dual_mov_b32 v252, v236 :: v_dual_mov_b32 v251, v235
	v_dual_mov_b32 v250, v234 :: v_dual_mov_b32 v249, v233
	v_wmma_f32_16x16x16_f16 v[61:68], v[25:28], v[33:36], v[61:68]
	ds_load_2addr_stride64_b64 v[233:236], v77 offset0:54 offset1:55
	v_wmma_f32_16x16x16_f16 v[125:132], v[53:56], v[105:108], v[125:132]
	s_wait_loadcnt 0x0
	v_wmma_f32_16x16x16_f16 v[17:24], v[113:116], v[9:12], v[17:24]
	s_clause 0x1
	scratch_load_b128 v[5:8], off, off offset:32
	scratch_load_b128 v[9:12], off, off offset:48
	s_clause 0x2
	scratch_store_b128 off, v[78:81], off offset:704
	scratch_store_b128 off, v[125:128], off offset:544
	;; [unrolled: 1-line block ×3, first 2 shown]
	s_clause 0x1
	scratch_load_b128 v[125:128], off, off offset:224 th:TH_LOAD_LU
	scratch_load_b128 v[129:132], off, off offset:240 th:TH_LOAD_LU
	scratch_store_b128 off, v[82:85], off offset:720 ; 16-byte Folded Spill
	s_clause 0x1
	scratch_load_b128 v[78:81], off, off offset:1520
	scratch_load_b128 v[106:109], off, off offset:1488
	s_wait_dscnt 0x2
	scratch_store_b128 off, v[86:89], off offset:1008 ; 16-byte Folded Spill
	s_clause 0x2
	scratch_load_b128 v[89:92], off, off offset:1344
	scratch_load_b32 v88, off, off offset:1264 th:TH_LOAD_LU
	scratch_load_b32 v87, off, off offset:1248 th:TH_LOAD_LU
	ds_load_2addr_stride64_b64 v[53:56], v77 offset0:52 offset1:53
	ds_load_2addr_stride64_b64 v[57:60], v77 offset0:48 offset1:49
	ds_load_b128 v[37:40], v254 offset:3072
	ds_load_b128 v[41:44], v254 offset:2048
	s_clause 0x5
	scratch_store_b128 off, v[145:148], off offset:640
	scratch_store_b128 off, v[149:152], off offset:656
	;; [unrolled: 1-line block ×6, first 2 shown]
	; sched_group_barrier mask(0x00000008) size(1) SyncID(0)
	; sched_group_barrier mask(0x00000020) size(1) SyncID(0)
	; sched_group_barrier mask(0x00000008) size(2) SyncID(0)
	; sched_group_barrier mask(0x00000008) size(1) SyncID(0)
	; sched_group_barrier mask(0x00000100) size(2) SyncID(0)
	; sched_group_barrier mask(0x00000008) size(1) SyncID(0)
	; sched_group_barrier mask(0x00000200) size(1) SyncID(0)
	; sched_group_barrier mask(0x00000008) size(1) SyncID(0)
	; sched_group_barrier mask(0x00000020) size(1) SyncID(0)
	; sched_group_barrier mask(0x00000008) size(2) SyncID(0)
	; sched_group_barrier mask(0x00000008) size(1) SyncID(0)
	; sched_group_barrier mask(0x00000100) size(2) SyncID(0)
	; sched_group_barrier mask(0x00000008) size(1) SyncID(0)
	; sched_group_barrier mask(0x00000200) size(1) SyncID(0)
	; sched_group_barrier mask(0x00000008) size(1) SyncID(0)
	; sched_group_barrier mask(0x00000020) size(1) SyncID(0)
	; sched_group_barrier mask(0x00000008) size(2) SyncID(0)
	; sched_group_barrier mask(0x00000008) size(1) SyncID(0)
	; sched_group_barrier mask(0x00000100) size(2) SyncID(0)
	; sched_group_barrier mask(0x00000008) size(1) SyncID(0)
	; sched_group_barrier mask(0x00000200) size(1) SyncID(0)
	; sched_group_barrier mask(0x00000008) size(1) SyncID(0)
	; sched_group_barrier mask(0x00000020) size(1) SyncID(0)
	; sched_group_barrier mask(0x00000008) size(2) SyncID(0)
	; sched_group_barrier mask(0x00000008) size(1) SyncID(0)
	; sched_group_barrier mask(0x00000100) size(2) SyncID(0)
	; sched_group_barrier mask(0x00000008) size(1) SyncID(0)
	; sched_group_barrier mask(0x00000200) size(1) SyncID(0)
	; sched_group_barrier mask(0x00000008) size(1) SyncID(0)
	; sched_group_barrier mask(0x00000020) size(1) SyncID(0)
	; sched_group_barrier mask(0x00000008) size(2) SyncID(0)
	; sched_group_barrier mask(0x00000008) size(1) SyncID(0)
	; sched_group_barrier mask(0x00000100) size(2) SyncID(0)
	; sched_group_barrier mask(0x00000008) size(1) SyncID(0)
	; sched_group_barrier mask(0x00000200) size(1) SyncID(0)
	; sched_group_barrier mask(0x00000008) size(1) SyncID(0)
	; sched_group_barrier mask(0x00000020) size(1) SyncID(0)
	; sched_group_barrier mask(0x00000008) size(2) SyncID(0)
	; sched_group_barrier mask(0x00000008) size(1) SyncID(0)
	; sched_group_barrier mask(0x00000100) size(2) SyncID(0)
	; sched_group_barrier mask(0x00000008) size(1) SyncID(0)
	; sched_group_barrier mask(0x00000200) size(1) SyncID(0)
	; sched_group_barrier mask(0x00000008) size(1) SyncID(0)
	; sched_group_barrier mask(0x00000020) size(1) SyncID(0)
	; sched_group_barrier mask(0x00000008) size(2) SyncID(0)
	; sched_group_barrier mask(0x00000008) size(1) SyncID(0)
	s_wait_dscnt 0x1
	v_mov_b32_e32 v148, v40
	s_wait_dscnt 0x0
	scratch_store_b128 off, v[41:44], off offset:1056 ; 16-byte Folded Spill
	ds_load_b128 v[41:44], v254 offset:2560
	v_dual_mov_b32 v147, v39 :: v_dual_mov_b32 v146, v38
	v_mov_b32_e32 v145, v37
	; sched_group_barrier mask(0x00000100) size(2) SyncID(0)
	; sched_group_barrier mask(0x00000008) size(1) SyncID(0)
	;; [unrolled: 1-line block ×20, first 2 shown]
	s_wait_dscnt 0x0
	v_dual_mov_b32 v152, v44 :: v_dual_mov_b32 v151, v43
	v_dual_mov_b32 v150, v42 :: v_dual_mov_b32 v149, v41
	s_wait_loadcnt 0x7
	v_wmma_f32_16x16x16_f16 v[5:12], v[113:116], v[33:36], v[5:12]
	s_wait_loadcnt 0x5
	v_wmma_f32_16x16x16_f16 v[125:132], v[113:116], v[13:16], v[125:132]
	s_clause 0x1
	scratch_store_b128 off, v[5:8], off offset:32
	scratch_store_b128 off, v[9:12], off offset:48
	; sched_barrier mask(0x00000000)
	scratch_load_b128 v[5:8], off, off offset:1296 ; 16-byte Folded Reload
	v_add_nc_u32_e32 v103, s17, v103
	v_add_nc_u32_e32 v143, s17, v143
	s_wait_loadcnt 0x2
	v_add_nc_u32_e32 v88, s17, v88
	s_wait_loadcnt 0x1
	v_add_nc_u32_e32 v87, 0x80, v87
	v_add_nc_u32_e32 v0, 0x80, v0
	;; [unrolled: 1-line block ×4, first 2 shown]
	v_dual_mov_b32 v29, v173 :: v_dual_add_nc_u32 v142, s17, v142
	v_dual_mov_b32 v22, v176 :: v_dual_add_nc_u32 v141, s17, v141
	v_add_nc_u32_e32 v104, s17, v104
	v_dual_mov_b32 v30, v174 :: v_dual_add_nc_u32 v255, s17, v255
	v_dual_mov_b32 v21, v175 :: v_dual_add_nc_u32 v102, s17, v102
	v_dual_mov_b32 v15, v53 :: v_dual_mov_b32 v16, v54
	v_dual_mov_b32 v19, v233 :: v_dual_mov_b32 v20, v234
	s_add_co_i32 s18, s18, 2
	scratch_store_b32 off, v141, off offset:1104 ; 4-byte Folded Spill
	v_dual_mov_b32 v141, v59 :: v_dual_mov_b32 v172, v60
	v_mov_b32_e32 v144, v56
	s_wait_alu 0xfffe
	s_cmp_lt_i32 s18, s6
	scratch_load_b128 v[10:13], off, off offset:1312 ; 16-byte Folded Reload
	v_dual_mov_b32 v171, v59 :: v_dual_mov_b32 v170, v58
	v_dual_mov_b32 v169, v57 :: v_dual_mov_b32 v14, v58
	s_wait_loadcnt 0x1
	v_mov_b32_e32 v40, v8
	v_dual_mov_b32 v32, v6 :: v_dual_mov_b32 v23, v7
	v_dual_mov_b32 v39, v7 :: v_dual_mov_b32 v38, v6
	;; [unrolled: 1-line block ×3, first 2 shown]
	scratch_load_b128 v[6:9], off, off offset:1280 ; 16-byte Folded Reload
	v_mov_b32_e32 v31, v5
	s_clause 0x1
	scratch_store_b32 off, v142, off offset:1120
	scratch_store_b32 off, v143, off offset:1136
	v_dual_mov_b32 v142, v60 :: v_dual_mov_b32 v143, v55
	s_wait_loadcnt 0x1
	v_dual_mov_b32 v44, v13 :: v_dual_mov_b32 v43, v12
	v_dual_mov_b32 v42, v11 :: v_dual_mov_b32 v41, v10
	v_dual_mov_b32 v28, v13 :: v_dual_mov_b32 v13, v57
	scratch_load_b128 v[57:60], off, off offset:1328 ; 16-byte Folded Reload
	v_dual_mov_b32 v35, v10 :: v_dual_mov_b32 v36, v11
	v_mov_b32_e32 v27, v12
	v_dual_mov_b32 v11, v235 :: v_dual_mov_b32 v12, v236
	s_wait_loadcnt 0x1
	v_dual_mov_b32 v33, v6 :: v_dual_mov_b32 v34, v7
	v_mov_b32_e32 v25, v8
	v_dual_mov_b32 v5, v6 :: v_dual_mov_b32 v26, v9
	v_mov_b32_e32 v6, v7
	v_mov_b32_e32 v7, v8
	s_wait_loadcnt 0x0
	v_dual_mov_b32 v8, v9 :: v_dual_mov_b32 v17, v57
	v_dual_mov_b32 v18, v58 :: v_dual_mov_b32 v9, v59
	v_mov_b32_e32 v10, v60
	s_cbranch_scc1 .LBB4_10
; %bb.11:
	s_wait_dscnt 0x0
	s_barrier_signal -1
	s_barrier_wait -1
	s_clause 0x1
	scratch_load_b128 v[17:20], off, off offset:768
	scratch_load_b128 v[21:24], off, off offset:784
	v_dual_mov_b32 v13, v5 :: v_dual_mov_b32 v14, v6
	v_dual_mov_b32 v15, v41 :: v_dual_mov_b32 v16, v42
	;; [unrolled: 1-line block ×3, first 2 shown]
	ds_load_b128 v[5:8], v253
	v_dual_mov_b32 v9, v173 :: v_dual_mov_b32 v10, v174
	v_dual_mov_b32 v11, v37 :: v_dual_mov_b32 v12, v38
	s_clause 0x1
	scratch_load_b128 v[25:28], off, off offset:576
	scratch_load_b128 v[29:32], off, off offset:592
	v_dual_mov_b32 v37, v175 :: v_dual_mov_b32 v38, v176
	s_clause 0x7
	scratch_load_b128 v[245:248], off, off th:TH_LOAD_LU
	scratch_load_b128 v[249:252], off, off offset:16 th:TH_LOAD_LU
	scratch_load_b128 v[85:88], off, off offset:1056 th:TH_LOAD_LU
	;; [unrolled: 1-line block ×7, first 2 shown]
	s_mov_b32 s7, 0
	s_mov_b32 s6, s25
	; sched_group_barrier mask(0x00000100) size(1) SyncID(0)
	s_wait_dscnt 0x0
	scratch_store_b128 off, v[5:8], off offset:1168 ; 16-byte Folded Spill
	scratch_load_b32 v8, off, off offset:1536 th:TH_LOAD_LU ; 4-byte Folded Reload
	s_wait_alu 0xfffe
	s_mul_u64 s[2:3], s[2:3], s[6:7]
	s_wait_loadcnt 0xb
	v_wmma_f32_16x16x16_f16 v[17:24], v[106:109], v[9:12], v[17:24]
	s_clause 0x1
	scratch_store_b128 off, v[17:20], off offset:768
	scratch_store_b128 off, v[21:24], off offset:784
	s_clause 0x1
	scratch_load_b128 v[17:20], off, off offset:416
	scratch_load_b128 v[21:24], off, off offset:432
	s_wait_loadcnt 0x0
	v_wmma_f32_16x16x16_f16 v[17:24], v[106:109], v[37:40], v[17:24]
	ds_load_2addr_stride64_b64 v[121:124], v8 offset0:32 offset1:33
	v_wmma_f32_16x16x16_f16 v[25:32], v[106:109], v[13:16], v[25:32]
	; sched_group_barrier mask(0x00000008) size(2) SyncID(0)
	; sched_group_barrier mask(0x00000100) size(1) SyncID(0)
	s_clause 0x3
	scratch_store_b128 off, v[17:20], off offset:416
	scratch_store_b128 off, v[21:24], off offset:432
	;; [unrolled: 1-line block ×4, first 2 shown]
	s_clause 0x5
	scratch_load_b128 v[25:28], off, off offset:544
	scratch_load_b128 v[17:20], off, off offset:448
	;; [unrolled: 1-line block ×4, first 2 shown]
	scratch_load_b128 v[73:76], off, off offset:416 th:TH_LOAD_LU
	scratch_load_b128 v[77:80], off, off offset:432 th:TH_LOAD_LU
	s_wait_loadcnt 0x3
	v_wmma_f32_16x16x16_f16 v[25:32], v[106:109], v[41:44], v[25:32]
	ds_load_2addr_stride64_b64 v[69:72], v8 offset0:36 offset1:37
	s_wait_loadcnt 0x2
	v_wmma_f32_16x16x16_f16 v[17:24], v[117:120], v[9:12], v[17:24]
	s_clause 0x1
	scratch_load_b128 v[109:112], off, off offset:64 th:TH_LOAD_LU
	scratch_load_b128 v[113:116], off, off offset:80 th:TH_LOAD_LU
	s_clause 0x3
	scratch_store_b128 off, v[25:28], off offset:544
	scratch_store_b128 off, v[29:32], off offset:560
	;; [unrolled: 1-line block ×4, first 2 shown]
	s_clause 0x3
	scratch_load_b128 v[17:20], off, off offset:736
	scratch_load_b128 v[21:24], off, off offset:752
	scratch_load_b128 v[29:32], off, off offset:640 th:TH_LOAD_LU
	scratch_load_b128 v[33:36], off, off offset:656 th:TH_LOAD_LU
	; sched_group_barrier mask(0x00000008) size(2) SyncID(0)
	; sched_group_barrier mask(0x00000100) size(1) SyncID(0)
	s_wait_loadcnt 0x2
	v_wmma_f32_16x16x16_f16 v[17:24], v[117:120], v[37:40], v[17:24]
	ds_load_2addr_stride64_b64 v[237:240], v8 offset0:34 offset1:35
	; sched_group_barrier mask(0x00000008) size(2) SyncID(0)
	; sched_group_barrier mask(0x00000100) size(1) SyncID(0)
	s_clause 0x1
	scratch_store_b128 off, v[17:20], off offset:736
	scratch_store_b128 off, v[21:24], off offset:752
	s_clause 0x1
	scratch_load_b128 v[17:20], off, off offset:480
	scratch_load_b128 v[21:24], off, off offset:496
	s_wait_loadcnt 0x0
	v_wmma_f32_16x16x16_f16 v[17:24], v[117:120], v[13:16], v[17:24]
	s_clause 0x1
	scratch_store_b128 off, v[17:20], off offset:480
	scratch_store_b128 off, v[21:24], off offset:496
	s_clause 0x1
	scratch_load_b128 v[17:20], off, off offset:512
	scratch_load_b128 v[21:24], off, off offset:528
	s_wait_loadcnt 0x0
	v_wmma_f32_16x16x16_f16 v[17:24], v[117:120], v[41:44], v[17:24]
	; sched_group_barrier mask(0x00000008) size(2) SyncID(0)
	s_clause 0x1
	scratch_store_b128 off, v[17:20], off offset:512
	scratch_store_b128 off, v[21:24], off offset:528
	s_clause 0x1
	scratch_load_b128 v[21:24], off, off offset:704 th:TH_LOAD_LU
	scratch_load_b128 v[25:28], off, off offset:720 th:TH_LOAD_LU
	ds_load_2addr_stride64_b64 v[17:20], v8 offset0:38 offset1:39
	v_wmma_f32_16x16x16_f16 v[29:36], v[1:4], v[9:12], v[29:36]
	; sched_group_barrier mask(0x00000100) size(1) SyncID(0)
	s_wait_loadcnt 0x0
	v_wmma_f32_16x16x16_f16 v[21:28], v[1:4], v[37:40], v[21:28]
	ds_load_b128 v[45:48], v253 offset:512
	; sched_group_barrier mask(0x00000008) size(2) SyncID(0)
	; sched_group_barrier mask(0x00000100) size(1) SyncID(0)
	s_wait_dscnt 0x0
	scratch_store_b128 off, v[45:48], off offset:1264 ; 16-byte Folded Spill
	s_clause 0x1
	scratch_load_b128 v[45:48], off, off offset:672
	scratch_load_b128 v[49:52], off, off offset:688
	s_wait_loadcnt 0x0
	v_wmma_f32_16x16x16_f16 v[45:52], v[1:4], v[13:16], v[45:52]
	s_clause 0x1
	scratch_store_b128 off, v[45:48], off offset:672
	scratch_store_b128 off, v[49:52], off offset:688
	s_clause 0x1
	scratch_load_b128 v[45:48], off, off offset:864
	scratch_load_b128 v[49:52], off, off offset:880
	s_wait_loadcnt 0x0
	v_wmma_f32_16x16x16_f16 v[45:52], v[1:4], v[41:44], v[45:52]
	ds_load_b128 v[0:3], v253 offset:1024
	v_wmma_f32_16x16x16_f16 v[245:252], v[89:92], v[9:12], v[245:252]
	v_wmma_f32_16x16x16_f16 v[61:68], v[89:92], v[37:40], v[61:68]
	; sched_group_barrier mask(0x00000008) size(2) SyncID(0)
	; sched_group_barrier mask(0x00000100) size(1) SyncID(0)
	;; [unrolled: 1-line block ×3, first 2 shown]
	s_clause 0x1
	scratch_store_b128 off, v[45:48], off offset:864
	scratch_store_b128 off, v[49:52], off offset:880
	ds_load_b128 v[45:48], v253 offset:1536
	s_clause 0x1
	scratch_store_b128 off, v[61:64], off offset:160
	scratch_store_b128 off, v[65:68], off offset:176
	v_dual_mov_b32 v61, v94 :: v_dual_mov_b32 v62, v95
	v_dual_mov_b32 v63, v96 :: v_dual_mov_b32 v64, v97
	;; [unrolled: 1-line block ×4, first 2 shown]
	s_clause 0x1
	scratch_load_b128 v[101:104], off, off offset:480 th:TH_LOAD_LU
	scratch_load_b128 v[105:108], off, off offset:496 th:TH_LOAD_LU
	; sched_group_barrier mask(0x00000100) size(1) SyncID(0)
	s_wait_dscnt 0x1
	scratch_store_b128 off, v[0:3], off offset:1248 ; 16-byte Folded Spill
	s_clause 0x1
	scratch_load_b128 v[0:3], off, off offset:608
	scratch_load_b128 v[4:7], off, off offset:624
	s_wait_dscnt 0x0
	scratch_store_b128 off, v[45:48], off offset:1216 ; 16-byte Folded Spill
	s_wait_loadcnt 0x0
	v_wmma_f32_16x16x16_f16 v[0:7], v[89:92], v[13:16], v[0:7]
	s_clause 0x1
	scratch_store_b128 off, v[0:3], off offset:608
	scratch_store_b128 off, v[4:7], off offset:624
	s_clause 0x1
	scratch_load_b128 v[0:3], off, off offset:896
	scratch_load_b128 v[4:7], off, off offset:912
	s_wait_loadcnt 0x0
	v_wmma_f32_16x16x16_f16 v[0:7], v[89:92], v[41:44], v[0:7]
	ds_load_b128 v[45:48], v253 offset:2048
	scratch_load_b128 v[89:92], off, off offset:1040 th:TH_LOAD_LU ; 16-byte Folded Reload
	; sched_group_barrier mask(0x00000008) size(2) SyncID(0)
	; sched_group_barrier mask(0x00000100) size(1) SyncID(0)
	s_clause 0x1
	scratch_store_b128 off, v[0:3], off offset:896
	scratch_store_b128 off, v[4:7], off offset:912
	s_clause 0x1
	scratch_load_b128 v[0:3], off, off offset:832
	scratch_load_b128 v[4:7], off, off offset:848
	s_wait_dscnt 0x0
	scratch_store_b128 off, v[45:48], off offset:1184 ; 16-byte Folded Spill
	s_wait_loadcnt 0x0
	v_wmma_f32_16x16x16_f16 v[0:7], v[85:88], v[9:12], v[0:7]
	s_clause 0x1
	scratch_store_b128 off, v[0:3], off offset:832
	scratch_store_b128 off, v[4:7], off offset:848
	s_clause 0x1
	scratch_load_b128 v[0:3], off, off offset:800
	scratch_load_b128 v[4:7], off, off offset:816
	s_wait_loadcnt 0x0
	v_wmma_f32_16x16x16_f16 v[0:7], v[85:88], v[37:40], v[0:7]
	ds_load_b128 v[45:48], v253 offset:2560
	v_wmma_f32_16x16x16_f16 v[225:232], v[85:88], v[13:16], v[225:232]
	v_wmma_f32_16x16x16_f16 v[61:68], v[85:88], v[41:44], v[61:68]
	; sched_group_barrier mask(0x00000008) size(2) SyncID(0)
	; sched_group_barrier mask(0x00000100) size(1) SyncID(0)
	;; [unrolled: 1-line block ×3, first 2 shown]
	s_clause 0x1
	scratch_store_b128 off, v[0:3], off offset:800
	scratch_store_b128 off, v[4:7], off offset:816
	s_wait_dscnt 0x0
	scratch_store_b128 off, v[45:48], off offset:1152 ; 16-byte Folded Spill
	ds_load_b128 v[45:48], v253 offset:3072
	v_wmma_f32_16x16x16_f16 v[193:200], v[149:152], v[9:12], v[193:200]
	v_wmma_f32_16x16x16_f16 v[201:208], v[149:152], v[37:40], v[201:208]
	ds_load_b128 v[0:3], v253 offset:3584
	v_wmma_f32_16x16x16_f16 v[185:192], v[149:152], v[13:16], v[185:192]
	v_wmma_f32_16x16x16_f16 v[209:216], v[149:152], v[41:44], v[209:216]
	s_clause 0x3
	scratch_store_b128 off, v[193:196], off offset:1056
	scratch_store_b128 off, v[197:200], off offset:1072
	;; [unrolled: 1-line block ×4, first 2 shown]
	; sched_group_barrier mask(0x00000100) size(1) SyncID(0)
	; sched_group_barrier mask(0x00000008) size(2) SyncID(0)
	; sched_group_barrier mask(0x00000100) size(1) SyncID(0)
	; sched_group_barrier mask(0x00000008) size(2) SyncID(0)
	s_wait_dscnt 0x1
	scratch_store_b128 off, v[45:48], off offset:1120 ; 16-byte Folded Spill
	s_clause 0x1
	scratch_load_b128 v[45:48], off, off offset:736 th:TH_LOAD_LU
	scratch_load_b128 v[49:52], off, off offset:752 th:TH_LOAD_LU
	s_wait_dscnt 0x0
	scratch_store_b128 off, v[0:3], off offset:1104 ; 16-byte Folded Spill
	ds_load_b128 v[0:3], v253 offset:8192
	v_wmma_f32_16x16x16_f16 v[177:184], v[145:148], v[9:12], v[177:184]
	v_wmma_f32_16x16x16_f16 v[217:224], v[145:148], v[37:40], v[217:224]
	; sched_group_barrier mask(0x00000100) size(1) SyncID(0)
	; sched_group_barrier mask(0x00000008) size(2) SyncID(0)
	s_wait_dscnt 0x0
	scratch_store_b128 off, v[0:3], off offset:224 ; 16-byte Folded Spill
	ds_load_2addr_stride64_b64 v[0:3], v8 offset0:48 offset1:49
	v_wmma_f32_16x16x16_f16 v[161:168], v[145:148], v[13:16], v[161:168]
	v_wmma_f32_16x16x16_f16 v[109:116], v[145:148], v[41:44], v[109:116]
	v_dual_mov_b32 v145, v153 :: v_dual_mov_b32 v146, v154
	v_dual_mov_b32 v147, v155 :: v_dual_mov_b32 v148, v156
	;; [unrolled: 1-line block ×4, first 2 shown]
	ds_load_2addr_stride64_b64 v[241:244], v8 offset0:52 offset1:53
	v_wmma_f32_16x16x16_f16 v[133:140], v[89:92], v[37:40], v[133:140]
	v_dual_mov_b32 v153, v217 :: v_dual_mov_b32 v154, v218
	v_dual_mov_b32 v155, v219 :: v_dual_mov_b32 v156, v220
	;; [unrolled: 1-line block ×3, first 2 shown]
	v_mov_b32_e32 v159, v223
	s_wait_dscnt 0x1
	scratch_store_b128 off, v[0:3], off offset:1136 ; 16-byte Folded Spill
	s_clause 0x1
	scratch_load_b128 v[0:3], off, off offset:96 th:TH_LOAD_LU
	scratch_load_b128 v[4:7], off, off offset:112 th:TH_LOAD_LU
	v_mov_b32_e32 v160, v224
	s_clause 0x1
	scratch_load_b128 v[217:220], off, off offset:512 th:TH_LOAD_LU
	scratch_load_b128 v[221:224], off, off offset:528 th:TH_LOAD_LU
	v_dual_mov_b32 v93, v109 :: v_dual_mov_b32 v94, v110
	v_dual_mov_b32 v95, v111 :: v_dual_mov_b32 v96, v112
	;; [unrolled: 1-line block ×8, first 2 shown]
	s_clause 0x1
	scratch_load_b128 v[137:140], off, off offset:800 th:TH_LOAD_LU
	scratch_load_b128 v[141:144], off, off offset:816 th:TH_LOAD_LU
	; sched_group_barrier mask(0x00000100) size(1) SyncID(0)
	; sched_group_barrier mask(0x00000008) size(2) SyncID(0)
	;; [unrolled: 1-line block ×3, first 2 shown]
	s_wait_loadcnt 0x4
	v_wmma_f32_16x16x16_f16 v[0:7], v[89:92], v[9:12], v[0:7]
	ds_load_2addr_stride64_b64 v[9:12], v8 offset0:50 offset1:51
	v_wmma_f32_16x16x16_f16 v[145:152], v[89:92], v[41:44], v[145:152]
	scratch_load_b128 v[37:40], off, off offset:768 ; 16-byte Folded Reload
	v_wmma_f32_16x16x16_f16 v[125:132], v[89:92], v[13:16], v[125:132]
	v_dual_mov_b32 v89, v57 :: v_dual_mov_b32 v90, v58
	v_dual_mov_b32 v91, v233 :: v_dual_mov_b32 v92, v234
	;; [unrolled: 1-line block ×3, first 2 shown]
	s_clause 0x1
	scratch_load_b128 v[57:60], off, off offset:992 th:TH_LOAD_LU
	scratch_load_b128 v[41:44], off, off offset:784
	v_dual_mov_b32 v13, v169 :: v_dual_mov_b32 v14, v170
	v_dual_mov_b32 v15, v53 :: v_dual_mov_b32 v16, v54
	ds_load_2addr_stride64_b64 v[117:120], v8 offset0:54 offset1:55
	v_dual_mov_b32 v53, v171 :: v_dual_mov_b32 v54, v172
	v_mov_b32_e32 v176, v68
	s_wait_dscnt 0x1
	scratch_store_b128 off, v[9:12], off offset:64 ; 16-byte Folded Spill
	v_dual_mov_b32 v175, v67 :: v_dual_mov_b32 v174, v66
	v_dual_mov_b32 v173, v65 :: v_dual_mov_b32 v172, v64
	;; [unrolled: 1-line block ×3, first 2 shown]
	v_mov_b32_e32 v169, v61
	scratch_load_b128 v[61:64], off, off offset:1008 th:TH_LOAD_LU ; 16-byte Folded Reload
	v_dual_mov_b32 v200, v132 :: v_dual_mov_b32 v199, v131
	v_dual_mov_b32 v198, v130 :: v_dual_mov_b32 v197, v129
	;; [unrolled: 1-line block ×12, first 2 shown]
	s_clause 0x3
	scratch_load_b128 v[145:148], off, off offset:672 th:TH_LOAD_LU
	scratch_load_b128 v[161:164], off, off offset:864 th:TH_LOAD_LU
	;; [unrolled: 1-line block ×4, first 2 shown]
	; sched_group_barrier mask(0x00000008) size(2) SyncID(0)
	; sched_group_barrier mask(0x00000100) size(1) SyncID(0)
	;; [unrolled: 1-line block ×4, first 2 shown]
	s_wait_loadcnt 0x6
	v_wmma_f32_16x16x16_f16 v[73:80], v[57:60], v[53:56], v[73:80]
	s_wait_loadcnt 0x5
	v_wmma_f32_16x16x16_f16 v[37:44], v[57:60], v[13:16], v[37:44]
	ds_load_b128 v[8:11], v253 offset:8704
	; sched_group_barrier mask(0x00000008) size(2) SyncID(0)
	; sched_group_barrier mask(0x00000100) size(1) SyncID(0)
	s_clause 0x1
	scratch_store_b128 off, v[37:40], off offset:768
	scratch_store_b128 off, v[41:44], off offset:784
	s_clause 0x1
	scratch_load_b128 v[37:40], off, off offset:576
	scratch_load_b128 v[41:44], off, off offset:592
	s_wait_dscnt 0x0
	scratch_store_b128 off, v[8:11], off offset:1232 ; 16-byte Folded Spill
	s_wait_loadcnt 0x0
	v_wmma_f32_16x16x16_f16 v[37:44], v[57:60], v[89:92], v[37:44]
	s_clause 0x1
	scratch_store_b128 off, v[37:40], off offset:576
	scratch_store_b128 off, v[41:44], off offset:592
	s_clause 0x1
	scratch_load_b128 v[37:40], off, off offset:544
	scratch_load_b128 v[41:44], off, off offset:560
	s_wait_loadcnt 0x0
	v_wmma_f32_16x16x16_f16 v[37:44], v[57:60], v[233:236], v[37:44]
	scratch_load_b128 v[57:60], off, off offset:1024 th:TH_LOAD_LU ; 16-byte Folded Reload
	ds_load_b128 v[8:11], v253 offset:9216
	; sched_group_barrier mask(0x00000008) size(2) SyncID(0)
	; sched_group_barrier mask(0x00000100) size(1) SyncID(0)
	s_clause 0x1
	scratch_store_b128 off, v[37:40], off offset:544
	scratch_store_b128 off, v[41:44], off offset:560
	s_clause 0x1
	scratch_load_b128 v[37:40], off, off offset:448 th:TH_LOAD_LU
	scratch_load_b128 v[41:44], off, off offset:464 th:TH_LOAD_LU
	s_wait_dscnt 0x0
	scratch_store_b128 off, v[8:11], off offset:1200 ; 16-byte Folded Spill
	s_wait_loadcnt 0x2
	v_wmma_f32_16x16x16_f16 v[45:52], v[57:60], v[53:56], v[45:52]
	s_wait_loadcnt 0x0
	v_wmma_f32_16x16x16_f16 v[37:44], v[57:60], v[13:16], v[37:44]
	ds_load_b128 v[8:11], v253 offset:9728
	v_wmma_f32_16x16x16_f16 v[101:108], v[57:60], v[89:92], v[101:108]
	v_wmma_f32_16x16x16_f16 v[217:224], v[57:60], v[233:236], v[217:224]
	; sched_group_barrier mask(0x00000008) size(2) SyncID(0)
	; sched_group_barrier mask(0x00000100) size(1) SyncID(0)
	; sched_group_barrier mask(0x00000008) size(2) SyncID(0)
	s_wait_dscnt 0x0
	scratch_store_b128 off, v[8:11], off offset:1040 ; 16-byte Folded Spill
	ds_load_b128 v[8:11], v253 offset:10240
	v_wmma_f32_16x16x16_f16 v[21:28], v[61:64], v[53:56], v[21:28]
	v_wmma_f32_16x16x16_f16 v[29:36], v[61:64], v[13:16], v[29:36]
	; sched_group_barrier mask(0x00000100) size(1) SyncID(0)
	; sched_group_barrier mask(0x00000008) size(2) SyncID(0)
	s_clause 0x1
	scratch_store_b128 off, v[21:24], off offset:704
	scratch_store_b128 off, v[25:28], off offset:720
	s_clause 0x1
	scratch_load_b128 v[21:24], off, off offset:160
	scratch_load_b128 v[25:28], off, off offset:176
	s_clause 0x1
	scratch_store_b128 off, v[29:32], off offset:640
	scratch_store_b128 off, v[33:36], off offset:656
	s_wait_dscnt 0x0
	scratch_store_b128 off, v[8:11], off offset:992 ; 16-byte Folded Spill
	v_mov_b32_e32 v11, v7
	v_dual_mov_b32 v10, v6 :: v_dual_mov_b32 v9, v5
	v_dual_mov_b32 v8, v4 :: v_dual_mov_b32 v7, v3
	v_mov_b32_e32 v6, v2
	v_mov_b32_e32 v5, v1
	;; [unrolled: 1-line block ×3, first 2 shown]
	ds_load_b128 v[0:3], v253 offset:10752
	v_wmma_f32_16x16x16_f16 v[145:152], v[61:64], v[89:92], v[145:152]
	v_wmma_f32_16x16x16_f16 v[161:168], v[61:64], v[233:236], v[161:168]
	v_dual_mov_b32 v57, v225 :: v_dual_mov_b32 v58, v226
	v_dual_mov_b32 v59, v227 :: v_dual_mov_b32 v60, v228
	;; [unrolled: 1-line block ×4, first 2 shown]
	s_clause 0x1
	scratch_load_b128 v[225:228], off, off offset:896 th:TH_LOAD_LU
	scratch_load_b128 v[229:232], off, off offset:912 th:TH_LOAD_LU
	; sched_group_barrier mask(0x00000100) size(1) SyncID(0)
	; sched_group_barrier mask(0x00000008) size(2) SyncID(0)
	s_wait_dscnt 0x0
	scratch_store_b128 off, v[0:3], off offset:736 ; 16-byte Folded Spill
	ds_load_b128 v[0:3], v253 offset:11264
	v_wmma_f32_16x16x16_f16 v[245:252], v[81:84], v[13:16], v[245:252]
	; sched_group_barrier mask(0x00000100) size(1) SyncID(0)
	s_clause 0x1
	scratch_store_b128 off, v[245:248], off
	scratch_store_b128 off, v[249:252], off offset:16
	s_wait_dscnt 0x0
	scratch_store_b128 off, v[0:3], off offset:96 ; 16-byte Folded Spill
	s_wait_loadcnt 0x2
	v_wmma_f32_16x16x16_f16 v[21:28], v[81:84], v[53:56], v[21:28]
	ds_load_b128 v[0:3], v253 offset:11776
	; sched_group_barrier mask(0x00000008) size(2) SyncID(0)
	; sched_group_barrier mask(0x00000100) size(1) SyncID(0)
	s_clause 0x1
	scratch_store_b128 off, v[21:24], off offset:160
	scratch_store_b128 off, v[25:28], off offset:176
	s_clause 0x1
	scratch_load_b128 v[25:28], off, off offset:608 th:TH_LOAD_LU
	scratch_load_b128 v[29:32], off, off offset:624 th:TH_LOAD_LU
	s_wait_dscnt 0x0
	scratch_store_b128 off, v[0:3], off offset:672 ; 16-byte Folded Spill
	scratch_load_b128 v[0:3], off, off offset:976 th:TH_LOAD_LU ; 16-byte Folded Reload
	s_wait_loadcnt 0x3
	v_wmma_f32_16x16x16_f16 v[225:232], v[81:84], v[233:236], v[225:232]
	s_wait_loadcnt 0x1
	v_wmma_f32_16x16x16_f16 v[25:32], v[81:84], v[89:92], v[25:32]
	s_clause 0x1
	scratch_load_b128 v[81:84], off, off offset:832 th:TH_LOAD_LU
	scratch_load_b128 v[85:88], off, off offset:848 th:TH_LOAD_LU
	; sched_group_barrier mask(0x00000008) size(2) SyncID(0)
	s_wait_loadcnt 0x2
	v_wmma_f32_16x16x16_f16 v[57:64], v[0:3], v[89:92], v[57:64]
	v_wmma_f32_16x16x16_f16 v[137:144], v[0:3], v[53:56], v[137:144]
	;; [unrolled: 1-line block ×3, first 2 shown]
	s_clause 0x1
	scratch_store_b128 off, v[57:60], off offset:288
	scratch_store_b128 off, v[61:64], off offset:304
	s_clause 0x1
	scratch_load_b128 v[57:60], off, off offset:1056
	scratch_load_b128 v[61:64], off, off offset:1072
	s_clause 0x1
	scratch_store_b128 off, v[169:172], off offset:608
	scratch_store_b128 off, v[173:176], off offset:624
	s_wait_loadcnt 0x2
	v_wmma_f32_16x16x16_f16 v[81:88], v[0:3], v[13:16], v[81:88]
	scratch_load_b128 v[0:3], off, off offset:960 th:TH_LOAD_LU ; 16-byte Folded Reload
	s_wait_loadcnt 0x0
	v_wmma_f32_16x16x16_f16 v[57:64], v[0:3], v[13:16], v[57:64]
	v_wmma_f32_16x16x16_f16 v[185:192], v[0:3], v[89:92], v[185:192]
	v_wmma_f32_16x16x16_f16 v[209:216], v[0:3], v[233:236], v[209:216]
	s_clause 0x1
	scratch_store_b128 off, v[57:60], off offset:1056
	scratch_store_b128 off, v[61:64], off offset:1072
	s_clause 0x1
	scratch_load_b128 v[57:60], off, off offset:384
	scratch_load_b128 v[61:64], off, off offset:400
	s_clause 0x3
	scratch_store_b128 off, v[185:188], off offset:256
	scratch_store_b128 off, v[189:192], off offset:272
	;; [unrolled: 1-line block ×4, first 2 shown]
	s_wait_loadcnt 0x0
	v_wmma_f32_16x16x16_f16 v[57:64], v[0:3], v[53:56], v[57:64]
	scratch_load_b128 v[0:3], off, off offset:944 th:TH_LOAD_LU ; 16-byte Folded Reload
	s_clause 0x1
	scratch_store_b128 off, v[57:60], off offset:384
	scratch_store_b128 off, v[61:64], off offset:400
	s_wait_loadcnt 0x0
	v_wmma_f32_16x16x16_f16 v[177:184], v[0:3], v[13:16], v[177:184]
	v_wmma_f32_16x16x16_f16 v[153:160], v[0:3], v[53:56], v[153:160]
	;; [unrolled: 1-line block ×4, first 2 shown]
	scratch_load_b128 v[0:3], off, off offset:928 th:TH_LOAD_LU ; 16-byte Folded Reload
	s_clause 0x3
	scratch_store_b128 off, v[177:180], off offset:320
	scratch_store_b128 off, v[153:156], off offset:352
	;; [unrolled: 1-line block ×4, first 2 shown]
	v_mov_b32_e32 v184, v132
	v_dual_mov_b32 v160, v100 :: v_dual_mov_b32 v183, v131
	v_dual_mov_b32 v182, v130 :: v_dual_mov_b32 v181, v129
	;; [unrolled: 1-line block ×7, first 2 shown]
	v_mov_b32_e32 v153, v93
	s_wait_loadcnt 0x0
	v_wmma_f32_16x16x16_f16 v[109:116], v[0:3], v[53:56], v[109:116]
	v_wmma_f32_16x16x16_f16 v[193:200], v[0:3], v[89:92], v[193:200]
	;; [unrolled: 1-line block ×4, first 2 shown]
	s_clause 0x1
	scratch_store_b128 off, v[109:112], off offset:32
	scratch_store_b128 off, v[113:116], off offset:48
	v_dual_mov_b32 v109, v193 :: v_dual_mov_b32 v110, v194
	v_dual_mov_b32 v111, v195 :: v_dual_mov_b32 v112, v196
	;; [unrolled: 1-line block ×4, first 2 shown]
	s_clause 0x1
	scratch_store_b128 off, v[201:204], off offset:192
	scratch_store_b128 off, v[205:208], off offset:208
	; sched_barrier mask(0x00000000)
	scratch_load_b128 v[0:3], off, off offset:1168 th:TH_LOAD_LU ; 16-byte Folded Reload
	v_dual_mov_b32 v15, v69 :: v_dual_mov_b32 v16, v70
	v_dual_mov_b32 v69, v123 :: v_dual_mov_b32 v70, v124
	;; [unrolled: 1-line block ×5, first 2 shown]
	s_clause 0x3
	scratch_load_b128 v[245:248], off, off offset:768 th:TH_LOAD_LU
	scratch_load_b128 v[233:236], off, off offset:544 th:TH_LOAD_LU
	;; [unrolled: 1-line block ×4, first 2 shown]
	v_dual_mov_b32 v13, v121 :: v_dual_mov_b32 v14, v122
	s_clause 0x5
	scratch_load_b128 v[129:132], off, off offset:640 th:TH_LOAD_LU
	scratch_load_b128 v[133:136], off, off offset:656 th:TH_LOAD_LU
	scratch_load_b128 v[169:172], off, off th:TH_LOAD_LU
	scratch_load_b128 v[93:96], off, off offset:160 th:TH_LOAD_LU
	scratch_load_b128 v[173:176], off, off offset:16 th:TH_LOAD_LU
	;; [unrolled: 1-line block ×3, first 2 shown]
	v_dual_mov_b32 v57, v81 :: v_dual_mov_b32 v58, v82
	v_dual_mov_b32 v59, v83 :: v_dual_mov_b32 v60, v84
	;; [unrolled: 1-line block ×4, first 2 shown]
	s_clause 0x7
	scratch_load_b128 v[193:196], off, off offset:1056 th:TH_LOAD_LU
	scratch_load_b128 v[201:204], off, off offset:384 th:TH_LOAD_LU
	;; [unrolled: 1-line block ×8, first 2 shown]
	s_wait_loadcnt 0x12
	v_wmma_f32_16x16x16_f16 v[73:80], v[0:3], v[69:72], v[73:80]
	s_clause 0x1
	scratch_store_b128 off, v[73:76], off offset:416
	scratch_store_b128 off, v[77:80], off offset:432
	s_clause 0x1
	scratch_load_b128 v[73:76], off, off offset:576 th:TH_LOAD_LU
	scratch_load_b128 v[77:80], off, off offset:592 th:TH_LOAD_LU
	s_wait_loadcnt 0x11
	v_wmma_f32_16x16x16_f16 v[245:252], v[0:3], v[13:16], v[245:252]
	s_wait_loadcnt 0x10
	v_wmma_f32_16x16x16_f16 v[233:240], v[0:3], v[17:20], v[233:240]
	;; [unrolled: 2-line block ×3, first 2 shown]
	scratch_load_b128 v[0:3], off, off offset:1264 th:TH_LOAD_LU ; 16-byte Folded Reload
	s_wait_loadcnt 0x0
	v_wmma_f32_16x16x16_f16 v[45:52], v[0:3], v[69:72], v[45:52]
	v_wmma_f32_16x16x16_f16 v[37:44], v[0:3], v[13:16], v[37:44]
	;; [unrolled: 1-line block ×4, first 2 shown]
	scratch_load_b128 v[0:3], off, off offset:1248 th:TH_LOAD_LU ; 16-byte Folded Reload
	v_dual_mov_b32 v216, v52 :: v_dual_mov_b32 v215, v51
	v_dual_mov_b32 v214, v50 :: v_dual_mov_b32 v213, v49
	;; [unrolled: 1-line block ×4, first 2 shown]
	s_clause 0x1
	scratch_load_b128 v[49:52], off, off offset:704 th:TH_LOAD_LU
	scratch_load_b128 v[53:56], off, off offset:720 th:TH_LOAD_LU
	v_mov_b32_e32 v192, v44
	scratch_store_b128 off, v[101:104], off offset:480 ; 16-byte Folded Spill
	v_dual_mov_b32 v191, v43 :: v_dual_mov_b32 v190, v42
	v_dual_mov_b32 v189, v41 :: v_dual_mov_b32 v188, v40
	;; [unrolled: 1-line block ×3, first 2 shown]
	v_mov_b32_e32 v185, v37
	scratch_store_b128 off, v[105:108], off offset:496 ; 16-byte Folded Spill
	v_mov_b32_e32 v41, v145
	v_dual_mov_b32 v101, v161 :: v_dual_mov_b32 v42, v146
	v_dual_mov_b32 v43, v147 :: v_dual_mov_b32 v44, v148
	;; [unrolled: 1-line block ×11, first 2 shown]
	v_mov_b32_e32 v40, v232
	s_clause 0x3
	scratch_load_b128 v[225:228], off, off offset:288 th:TH_LOAD_LU
	scratch_load_b128 v[145:148], off, off offset:608 th:TH_LOAD_LU
	scratch_load_b128 v[229:232], off, off offset:304 th:TH_LOAD_LU
	scratch_load_b128 v[149:152], off, off offset:624 th:TH_LOAD_LU
	s_clause 0x1
	scratch_store_b128 off, v[217:220], off offset:512
	scratch_store_b128 off, v[221:224], off offset:528
	s_clause 0x3
	scratch_load_b128 v[217:220], off, off offset:320 th:TH_LOAD_LU
	scratch_load_b128 v[161:164], off, off offset:352 th:TH_LOAD_LU
	scratch_load_b128 v[221:224], off, off offset:336 th:TH_LOAD_LU
	scratch_load_b128 v[165:168], off, off offset:368 th:TH_LOAD_LU
	s_wait_loadcnt 0xa
	v_wmma_f32_16x16x16_f16 v[129:136], v[0:3], v[13:16], v[129:136]
	v_wmma_f32_16x16x16_f16 v[41:48], v[0:3], v[21:24], v[41:48]
	v_wmma_f32_16x16x16_f16 v[101:108], v[0:3], v[17:20], v[101:108]
	s_wait_loadcnt 0x8
	v_wmma_f32_16x16x16_f16 v[49:56], v[0:3], v[69:72], v[49:56]
	scratch_load_b128 v[0:3], off, off offset:1216 th:TH_LOAD_LU ; 16-byte Folded Reload
	s_wait_loadcnt 0x0
	v_wmma_f32_16x16x16_f16 v[169:176], v[0:3], v[13:16], v[169:176]
	v_wmma_f32_16x16x16_f16 v[93:100], v[0:3], v[69:72], v[93:100]
	;; [unrolled: 1-line block ×4, first 2 shown]
	scratch_load_b128 v[0:3], off, off offset:1184 th:TH_LOAD_LU ; 16-byte Folded Reload
	s_wait_loadcnt 0x0
	v_wmma_f32_16x16x16_f16 v[137:144], v[0:3], v[69:72], v[137:144]
	v_wmma_f32_16x16x16_f16 v[57:64], v[0:3], v[13:16], v[57:64]
	;; [unrolled: 1-line block ×4, first 2 shown]
	scratch_load_b128 v[0:3], off, off offset:1152 th:TH_LOAD_LU ; 16-byte Folded Reload
	s_clause 0x1
	scratch_store_b128 off, v[137:140], off offset:800
	scratch_store_b128 off, v[141:144], off offset:816
	s_clause 0x1
	scratch_load_b128 v[137:140], off, off offset:128 th:TH_LOAD_LU
	scratch_load_b128 v[141:144], off, off offset:144 th:TH_LOAD_LU
	s_wait_loadcnt 0x2
	v_wmma_f32_16x16x16_f16 v[193:200], v[0:3], v[13:16], v[193:200]
	v_wmma_f32_16x16x16_f16 v[201:208], v[0:3], v[69:72], v[201:208]
	v_wmma_f32_16x16x16_f16 v[81:88], v[0:3], v[21:24], v[81:88]
	s_wait_loadcnt 0x0
	v_wmma_f32_16x16x16_f16 v[137:144], v[0:3], v[17:20], v[137:144]
	scratch_load_b128 v[0:3], off, off offset:1120 th:TH_LOAD_LU ; 16-byte Folded Reload
	s_wait_loadcnt 0x0
	v_wmma_f32_16x16x16_f16 v[217:224], v[0:3], v[13:16], v[217:224]
	v_wmma_f32_16x16x16_f16 v[161:168], v[0:3], v[69:72], v[161:168]
	;; [unrolled: 1-line block ×4, first 2 shown]
	scratch_load_b128 v[0:3], off, off offset:1104 th:TH_LOAD_LU ; 16-byte Folded Reload
	s_wait_loadcnt 0x0
	v_wmma_f32_16x16x16_f16 v[121:128], v[0:3], v[69:72], v[121:128]
	s_clause 0x1
	scratch_load_b128 v[65:68], off, off offset:192 th:TH_LOAD_LU
	scratch_load_b128 v[69:72], off, off offset:208 th:TH_LOAD_LU
	v_wmma_f32_16x16x16_f16 v[4:11], v[0:3], v[13:16], v[4:11]
	v_wmma_f32_16x16x16_f16 v[109:116], v[0:3], v[21:24], v[109:116]
	v_dual_mov_b32 v15, v241 :: v_dual_mov_b32 v16, v242
	s_wait_loadcnt 0x0
	v_wmma_f32_16x16x16_f16 v[65:72], v[0:3], v[17:20], v[65:72]
	scratch_load_b128 v[0:3], off, off offset:1136 th:TH_LOAD_LU ; 16-byte Folded Reload
	v_dual_mov_b32 v19, v117 :: v_dual_mov_b32 v20, v118
	s_wait_loadcnt 0x0
	v_dual_mov_b32 v13, v0 :: v_dual_mov_b32 v14, v1
	v_dual_mov_b32 v241, v2 :: v_dual_mov_b32 v242, v3
	scratch_load_b128 v[0:3], off, off offset:64 th:TH_LOAD_LU ; 16-byte Folded Reload
	s_wait_loadcnt 0x0
	v_dual_mov_b32 v17, v0 :: v_dual_mov_b32 v18, v1
	v_dual_mov_b32 v117, v2 :: v_dual_mov_b32 v118, v3
	scratch_load_b128 v[0:3], off, off offset:224 th:TH_LOAD_LU ; 16-byte Folded Reload
	s_wait_loadcnt 0x0
	v_wmma_f32_16x16x16_f16 v[245:252], v[0:3], v[13:16], v[245:252]
	v_wmma_f32_16x16x16_f16 v[73:80], v[0:3], v[17:20], v[73:80]
	;; [unrolled: 1-line block ×3, first 2 shown]
	s_clause 0x1
	scratch_store_b128 off, v[245:248], off offset:768
	scratch_store_b128 off, v[249:252], off offset:784
	s_clause 0x1
	scratch_load_b128 v[245:248], off, off offset:416
	scratch_load_b128 v[249:252], off, off offset:432
	s_wait_loadcnt 0x0
	v_wmma_f32_16x16x16_f16 v[245:252], v[0:3], v[241:244], v[245:252]
	scratch_load_b128 v[0:3], off, off offset:1232 th:TH_LOAD_LU ; 16-byte Folded Reload
	s_clause 0x1
	scratch_store_b128 off, v[245:248], off offset:416
	scratch_store_b128 off, v[249:252], off offset:432
	v_dual_mov_b32 v252, v80 :: v_dual_mov_b32 v251, v79
	v_dual_mov_b32 v250, v78 :: v_dual_mov_b32 v249, v77
	;; [unrolled: 1-line block ×4, first 2 shown]
	s_clause 0x1
	scratch_load_b128 v[73:76], off, off offset:512 th:TH_LOAD_LU
	scratch_load_b128 v[77:80], off, off offset:528 th:TH_LOAD_LU
	s_wait_loadcnt 0x2
	v_wmma_f32_16x16x16_f16 v[185:192], v[0:3], v[13:16], v[185:192]
	v_wmma_f32_16x16x16_f16 v[209:216], v[0:3], v[241:244], v[209:216]
	s_clause 0x1
	scratch_store_b128 off, v[185:188], off offset:448
	scratch_store_b128 off, v[189:192], off offset:464
	s_clause 0x1
	scratch_load_b128 v[185:188], off, off offset:480 th:TH_LOAD_LU
	scratch_load_b128 v[189:192], off, off offset:496 th:TH_LOAD_LU
	s_wait_loadcnt 0x2
	v_wmma_f32_16x16x16_f16 v[73:80], v[0:3], v[117:120], v[73:80]
	s_wait_loadcnt 0x0
	v_wmma_f32_16x16x16_f16 v[185:192], v[0:3], v[17:20], v[185:192]
	scratch_load_b128 v[0:3], off, off offset:1200 th:TH_LOAD_LU ; 16-byte Folded Reload
	s_wait_loadcnt 0x0
	v_wmma_f32_16x16x16_f16 v[129:136], v[0:3], v[13:16], v[129:136]
	v_wmma_f32_16x16x16_f16 v[49:56], v[0:3], v[241:244], v[49:56]
	;; [unrolled: 1-line block ×4, first 2 shown]
	scratch_load_b128 v[0:3], off, off offset:1040 th:TH_LOAD_LU ; 16-byte Folded Reload
	s_wait_loadcnt 0x0
	v_wmma_f32_16x16x16_f16 v[169:176], v[0:3], v[13:16], v[169:176]
	v_wmma_f32_16x16x16_f16 v[93:100], v[0:3], v[241:244], v[93:100]
	;; [unrolled: 1-line block ×4, first 2 shown]
	scratch_load_b128 v[0:3], off, off offset:992 th:TH_LOAD_LU ; 16-byte Folded Reload
	s_clause 0x1
	scratch_store_b128 off, v[169:172], off
	scratch_store_b128 off, v[173:176], off offset:16
	v_dual_mov_b32 v176, v100 :: v_dual_mov_b32 v175, v99
	v_dual_mov_b32 v174, v98 :: v_dual_mov_b32 v173, v97
	;; [unrolled: 1-line block ×8, first 2 shown]
	s_clause 0x1
	scratch_load_b128 v[21:24], off, off offset:800 th:TH_LOAD_LU
	scratch_load_b128 v[25:28], off, off offset:816 th:TH_LOAD_LU
	v_mov_b32_e32 v29, v33
	v_dual_mov_b32 v30, v34 :: v_dual_mov_b32 v31, v35
	v_dual_mov_b32 v32, v36 :: v_dual_mov_b32 v33, v37
	v_mov_b32_e32 v34, v38
	v_mov_b32_e32 v35, v39
	;; [unrolled: 1-line block ×3, first 2 shown]
	s_wait_loadcnt 0x2
	v_wmma_f32_16x16x16_f16 v[57:64], v[0:3], v[13:16], v[57:64]
	v_wmma_f32_16x16x16_f16 v[225:232], v[0:3], v[17:20], v[225:232]
	;; [unrolled: 1-line block ×3, first 2 shown]
	s_clause 0x1
	scratch_store_b128 off, v[145:148], off offset:608
	scratch_store_b128 off, v[149:152], off offset:624
	s_wait_loadcnt 0x0
	v_wmma_f32_16x16x16_f16 v[21:28], v[0:3], v[241:244], v[21:28]
	scratch_load_b128 v[0:3], off, off offset:736 th:TH_LOAD_LU ; 16-byte Folded Reload
	s_wait_loadcnt 0x0
	v_wmma_f32_16x16x16_f16 v[193:200], v[0:3], v[13:16], v[193:200]
	v_wmma_f32_16x16x16_f16 v[201:208], v[0:3], v[241:244], v[201:208]
	;; [unrolled: 1-line block ×4, first 2 shown]
	scratch_load_b128 v[0:3], off, off offset:96 th:TH_LOAD_LU ; 16-byte Folded Reload
	s_clause 0x3
	scratch_store_b128 off, v[193:196], off offset:1056
	scratch_store_b128 off, v[201:204], off offset:384
	;; [unrolled: 1-line block ×4, first 2 shown]
	v_mov_b32_e32 v208, v88
	v_dual_mov_b32 v200, v144 :: v_dual_mov_b32 v207, v87
	v_dual_mov_b32 v206, v86 :: v_dual_mov_b32 v205, v85
	;; [unrolled: 1-line block ×7, first 2 shown]
	v_mov_b32_e32 v193, v137
	s_wait_loadcnt 0x0
	v_wmma_f32_16x16x16_f16 v[217:224], v[0:3], v[13:16], v[217:224]
	v_wmma_f32_16x16x16_f16 v[161:168], v[0:3], v[241:244], v[161:168]
	;; [unrolled: 1-line block ×4, first 2 shown]
	scratch_load_b128 v[0:3], off, off offset:672 th:TH_LOAD_LU ; 16-byte Folded Reload
	s_clause 0x1
	scratch_store_b128 off, v[153:156], off offset:64
	scratch_store_b128 off, v[157:160], off offset:80
	s_wait_loadcnt 0x0
	v_wmma_f32_16x16x16_f16 v[4:11], v[0:3], v[13:16], v[4:11]
	v_wmma_f32_16x16x16_f16 v[121:128], v[0:3], v[241:244], v[121:128]
	;; [unrolled: 1-line block ×4, first 2 shown]
	; sched_group_barrier mask(0x00000008) size(64) SyncID(0)
	s_clause 0x7
	scratch_store_b128 off, v[4:7], off offset:96
	scratch_store_b128 off, v[8:11], off offset:112
	;; [unrolled: 1-line block ×8, first 2 shown]
	; sched_barrier mask(0x00000000)
	s_clause 0x1
	scratch_load_b128 v[0:3], off, off offset:768 th:TH_LOAD_LU
	scratch_load_b128 v[4:7], off, off offset:784 th:TH_LOAD_LU
	v_cvt_f16_f32_e64 v148, v53
	v_cvt_f16_f32_e64 v149, v54
	;; [unrolled: 1-line block ×4, first 2 shown]
	v_dual_mov_b32 v92, v28 :: v_dual_mov_b32 v91, v27
	v_dual_mov_b32 v90, v26 :: v_dual_mov_b32 v89, v25
	;; [unrolled: 1-line block ×4, first 2 shown]
	s_delay_alu instid0(VALU_DEP_3)
	v_cvt_f16_f32_e32 v117, v89
	v_cvt_f16_f32_e64 v89, v193
	scratch_load_b32 v193, off, off offset:1584 th:TH_LOAD_LU ; 4-byte Folded Reload
	v_cvt_f16_f32_e32 v118, v90
	v_cvt_f16_f32_e64 v90, v194
	scratch_load_b32 v194, off, off offset:1580 th:TH_LOAD_LU ; 4-byte Folded Reload
	v_cvt_f16_f32_e64 v152, v41
	v_cvt_f16_f32_e64 v253, v42
	;; [unrolled: 1-line block ×4, first 2 shown]
	s_clause 0x1
	scratch_load_b128 v[37:40], off, off offset:608 th:TH_LOAD_LU
	scratch_load_b128 v[41:44], off, off offset:624 th:TH_LOAD_LU
	s_add_co_i32 s2, s5, s3
	s_and_b32 s1, s1, 0xffff
	s_lshl_b32 s2, s2, 1
	s_mov_b32 s3, 0x31004000
	v_cvt_f16_f32_e64 v129, v129
	v_cvt_f16_f32_e64 v65, v130
	;; [unrolled: 1-line block ×12, first 2 shown]
	v_cvt_f16_f32_e32 v113, v45
	v_cvt_f16_f32_e32 v50, v46
	v_cvt_f16_f32_e32 v51, v47
	v_cvt_f16_f32_e32 v52, v48
	v_cvt_f16_f32_e32 v8, v101
	v_cvt_f16_f32_e32 v114, v102
	v_cvt_f16_f32_e32 v115, v103
	v_cvt_f16_f32_e32 v49, v104
	v_cvt_f16_f32_e64 v241, v105
	v_cvt_f16_f32_e64 v242, v106
	v_cvt_f16_f32_e64 v243, v107
	v_cvt_f16_f32_e64 v244, v108
	v_cvt_f16_f32_e32 v109, v93
	v_cvt_f16_f32_e32 v110, v94
	v_cvt_f16_f32_e32 v111, v95
	v_cvt_f16_f32_e32 v112, v96
	v_cvt_f16_f32_e32 v45, v97
	v_cvt_f16_f32_e32 v46, v98
	v_cvt_f16_f32_e32 v47, v99
	v_cvt_f16_f32_e32 v48, v100
	v_cvt_f16_f32_e64 v125, v169
	v_cvt_f16_f32_e64 v126, v170
	v_cvt_f16_f32_e64 v127, v171
	v_cvt_f16_f32_e64 v128, v172
	;; [unrolled: 12-line block ×3, first 2 shown]
	v_cvt_f16_f32_e32 v119, v91
	v_cvt_f16_f32_e32 v120, v92
	v_cvt_f16_f32_e64 v105, v225
	v_cvt_f16_f32_e64 v106, v226
	;; [unrolled: 1-line block ×36, first 2 shown]
	s_wait_loadcnt 0x5
	v_cvt_f16_f32_e32 v0, v0
	scratch_store_b32 off, v0, off offset:128 ; 4-byte Folded Spill
	v_cvt_f16_f32_e32 v0, v1
	scratch_store_b32 off, v0, off offset:160 ; 4-byte Folded Spill
	;; [unrolled: 2-line block ×3, first 2 shown]
	v_cvt_f16_f32_e32 v0, v3
	s_wait_loadcnt 0x2
	v_lshlrev_b32_e32 v194, 1, v194
	scratch_store_b32 off, v0, off offset:288 ; 4-byte Folded Spill
	v_cvt_f16_f32_e32 v0, v4
	s_wait_loadcnt 0x1
	v_cvt_f16_f32_e32 v97, v37
	v_cvt_f16_f32_e32 v98, v38
	;; [unrolled: 1-line block ×4, first 2 shown]
	scratch_store_b32 off, v0, off offset:320 ; 4-byte Folded Spill
	v_cvt_f16_f32_e32 v0, v5
	s_wait_loadcnt 0x0
	v_cvt_f16_f32_e32 v101, v41
	v_cvt_f16_f32_e32 v102, v42
	;; [unrolled: 1-line block ×4, first 2 shown]
	scratch_store_b32 off, v0, off offset:352 ; 4-byte Folded Spill
	v_cvt_f16_f32_e32 v0, v6
	scratch_store_b32 off, v0, off offset:480 ; 4-byte Folded Spill
	v_cvt_f16_f32_e32 v0, v7
	scratch_store_b32 off, v0, off offset:512 ; 4-byte Folded Spill
	s_clause 0x1
	scratch_load_b128 v[0:3], off, off offset:416 th:TH_LOAD_LU
	scratch_load_b128 v[4:7], off, off offset:432 th:TH_LOAD_LU
	s_wait_loadcnt 0x1
	v_cvt_f16_f32_e32 v0, v0
	scratch_store_b32 off, v0, off offset:544 ; 4-byte Folded Spill
	v_cvt_f16_f32_e32 v0, v1
	scratch_store_b32 off, v0, off offset:576 ; 4-byte Folded Spill
	;; [unrolled: 2-line block ×4, first 2 shown]
	s_wait_loadcnt 0x0
	v_cvt_f16_f32_e32 v0, v4
	scratch_store_b32 off, v0, off offset:704 ; 4-byte Folded Spill
	v_cvt_f16_f32_e32 v0, v5
	scratch_store_b32 off, v0, off offset:736 ; 4-byte Folded Spill
	v_cvt_f16_f32_e32 v0, v6
	scratch_store_b32 off, v0, off offset:768 ; 4-byte Folded Spill
	v_cvt_f16_f32_e32 v0, v7
	scratch_store_b32 off, v0, off offset:416 ; 4-byte Folded Spill
	v_dual_mov_b32 v0, v245 :: v_dual_mov_b32 v1, v246
	v_dual_mov_b32 v2, v247 :: v_dual_mov_b32 v3, v248
	v_mov_b32_e32 v4, v249
	s_delay_alu instid0(VALU_DEP_3)
	v_cvt_f16_f32_e32 v0, v0
	v_dual_mov_b32 v5, v250 :: v_dual_mov_b32 v6, v251
	v_mov_b32_e32 v7, v252
	scratch_store_b32 off, v0, off offset:800 ; 4-byte Folded Spill
	v_cvt_f16_f32_e32 v0, v1
	scratch_store_b32 off, v0, off offset:832 ; 4-byte Folded Spill
	v_cvt_f16_f32_e32 v0, v2
	;; [unrolled: 2-line block ×7, first 2 shown]
	scratch_store_b32 off, v0, off offset:976 ; 4-byte Folded Spill
	v_dual_mov_b32 v0, v233 :: v_dual_mov_b32 v1, v234
	v_dual_mov_b32 v2, v235 :: v_dual_mov_b32 v3, v236
	;; [unrolled: 1-line block ×4, first 2 shown]
	s_delay_alu instid0(VALU_DEP_4)
	v_cvt_f16_f32_e64 v233, v0
	v_cvt_f16_f32_e32 v0, v73
	v_cvt_f16_f32_e64 v234, v1
	v_cvt_f16_f32_e64 v235, v2
	;; [unrolled: 1-line block ×4, first 2 shown]
	scratch_store_b32 off, v0, off offset:992 ; 4-byte Folded Spill
	v_cvt_f16_f32_e32 v0, v74
	v_cvt_f16_f32_e64 v238, v5
	v_cvt_f16_f32_e64 v239, v6
	;; [unrolled: 1-line block ×3, first 2 shown]
	scratch_load_b32 v73, off, off offset:1568 th:TH_LOAD_LU ; 4-byte Folded Reload
	scratch_store_b32 off, v0, off offset:1008 ; 4-byte Folded Spill
	v_cvt_f16_f32_e32 v0, v75
	scratch_store_b32 off, v0, off offset:1024 ; 4-byte Folded Spill
	v_cvt_f16_f32_e32 v0, v76
	scratch_store_b32 off, v0, off offset:1040 ; 4-byte Folded Spill
	v_cvt_f16_f32_e32 v0, v77
	scratch_store_b32 off, v0, off offset:1088 ; 4-byte Folded Spill
	v_cvt_f16_f32_e32 v0, v78
	scratch_store_b32 off, v0, off offset:1104 ; 4-byte Folded Spill
	v_cvt_f16_f32_e32 v0, v79
	scratch_store_b32 off, v0, off offset:1120 ; 4-byte Folded Spill
	v_cvt_f16_f32_e32 v0, v80
	scratch_store_b32 off, v0, off offset:1136 ; 4-byte Folded Spill
	v_cvt_f16_f32_e64 v0, v185
	scratch_store_b32 off, v0, off offset:1152 ; 4-byte Folded Spill
	v_cvt_f16_f32_e64 v0, v186
	;; [unrolled: 2-line block ×9, first 2 shown]
	v_cvt_f16_f32_e64 v209, v167
	scratch_store_b32 off, v0, off offset:1280 ; 4-byte Folded Spill
	v_cvt_f16_f32_e64 v0, v210
	v_cvt_f16_f32_e64 v210, v168
	scratch_store_b32 off, v0, off offset:1296 ; 4-byte Folded Spill
	v_cvt_f16_f32_e64 v0, v211
	scratch_store_b32 off, v0, off offset:1312 ; 4-byte Folded Spill
	;; [unrolled: 2-line block ×7, first 2 shown]
	s_clause 0x1
	scratch_load_b128 v[0:3], off, off offset:448 th:TH_LOAD_LU
	scratch_load_b128 v[4:7], off, off offset:464 th:TH_LOAD_LU
	s_wait_loadcnt 0x2
	v_lshrrev_b32_e32 v211, 3, v73
	scratch_load_b32 v73, off, off offset:1576 th:TH_LOAD_LU ; 4-byte Folded Reload
	v_and_or_b32 v193, v211, 16, v193
	s_delay_alu instid0(VALU_DEP_1)
	v_lshlrev_b32_e32 v193, 7, v193
	s_wait_loadcnt 0x2
	v_cvt_f16_f32_e32 v0, v0
	v_cvt_f16_f32_e64 v153, v1
	v_cvt_f16_f32_e64 v145, v2
	v_cvt_f16_f32_e32 v69, v3
	s_wait_loadcnt 0x1
	v_cvt_f16_f32_e32 v70, v4
	scratch_store_b32 off, v0, off offset:1408 ; 4-byte Folded Spill
	v_cvt_f16_f32_e32 v71, v5
	v_cvt_f16_f32_e32 v72, v6
	v_cvt_f16_f32_e64 v157, v7
	v_dual_mov_b32 v0, v29 :: v_dual_mov_b32 v1, v30
	v_dual_mov_b32 v2, v31 :: v_dual_mov_b32 v3, v32
	;; [unrolled: 1-line block ×4, first 2 shown]
	s_delay_alu instid0(VALU_DEP_4)
	v_cvt_f16_f32_e32 v53, v0
	v_cvt_f16_f32_e32 v54, v1
	;; [unrolled: 1-line block ×8, first 2 shown]
	s_clause 0x1
	scratch_load_b128 v[0:3], off, off th:TH_LOAD_LU
	scratch_load_b128 v[4:7], off, off offset:16 th:TH_LOAD_LU
	v_cvt_f16_f32_e64 v29, v173
	v_cvt_f16_f32_e64 v30, v174
	;; [unrolled: 1-line block ×4, first 2 shown]
	s_wait_loadcnt 0x2
	v_and_b32_e32 v73, 48, v73
	s_delay_alu instid0(VALU_DEP_1) | instskip(NEXT) | instid1(VALU_DEP_1)
	v_lshlrev_b32_e32 v73, 1, v73
	v_or3_b32 v73, v73, v193, v194
	scratch_load_b32 v193, off, off offset:1572 th:TH_LOAD_LU ; 4-byte Folded Reload
	v_lshl_or_b32 v194, s4, 8, v211
	s_lshl_b32 s4, s25, 5
	s_wait_loadcnt 0x2
	v_cvt_f16_f32_e32 v21, v0
	v_cvt_f16_f32_e32 v22, v1
	;; [unrolled: 1-line block ×4, first 2 shown]
	s_wait_loadcnt 0x1
	v_cvt_f16_f32_e32 v25, v4
	v_cvt_f16_f32_e32 v26, v5
	v_cvt_f16_f32_e32 v27, v6
	v_cvt_f16_f32_e32 v28, v7
	s_clause 0x1
	scratch_load_b128 v[0:3], off, off offset:384 th:TH_LOAD_LU
	scratch_load_b128 v[4:7], off, off offset:400 th:TH_LOAD_LU
	s_wait_loadcnt 0x2
	v_and_b32_e32 v212, 56, v193
	s_delay_alu instid0(VALU_DEP_1) | instskip(NEXT) | instid1(VALU_DEP_1)
	v_lshl_or_b32 v193, s26, 8, v212
	v_mad_co_u64_u32 v[193:194], null, v194, s25, v[193:194]
	s_wait_loadcnt 0x1
	v_cvt_f16_f32_e32 v16, v0
	v_cvt_f16_f32_e32 v74, v1
	;; [unrolled: 1-line block ×4, first 2 shown]
	s_wait_loadcnt 0x0
	v_cvt_f16_f32_e32 v77, v4
	v_cvt_f16_f32_e32 v78, v5
	;; [unrolled: 1-line block ×4, first 2 shown]
	s_clause 0x1
	scratch_load_b128 v[0:3], off, off offset:1056 th:TH_LOAD_LU
	scratch_load_b128 v[4:7], off, off offset:1072 th:TH_LOAD_LU
	s_wait_dscnt 0x0
	s_barrier_signal -1
	s_barrier_wait -1
	s_wait_loadcnt 0x1
	v_cvt_f16_f32_e32 v9, v0
	scratch_load_b32 v0, off, off offset:128 th:TH_LOAD_LU ; 4-byte Folded Reload
	v_cvt_f16_f32_e32 v10, v1
	v_cvt_f16_f32_e32 v11, v2
	;; [unrolled: 1-line block ×3, first 2 shown]
	s_wait_loadcnt 0x1
	v_cvt_f16_f32_e32 v17, v4
	v_cvt_f16_f32_e32 v18, v5
	v_lshlrev_b32_e32 v5, 1, v193
	v_cvt_f16_f32_e32 v20, v6
	v_add_nc_u32_e32 v6, 0xc0, v193
	v_cvt_f16_f32_e32 v19, v7
	s_delay_alu instid0(VALU_DEP_2)
	v_lshlrev_b32_e32 v7, 1, v6
	s_wait_loadcnt 0x0
	ds_store_b16 v73, v0
	scratch_load_b32 v0, off, off offset:160 th:TH_LOAD_LU ; 4-byte Folded Reload
	s_wait_loadcnt 0x0
	ds_store_b16 v73, v0 offset:128
	scratch_load_b32 v0, off, off offset:256 th:TH_LOAD_LU ; 4-byte Folded Reload
	s_wait_loadcnt 0x0
	ds_store_b16 v73, v0 offset:256
	;; [unrolled: 3-line block ×7, first 2 shown]
	v_lshlrev_b32_e32 v0, 1, v212
	s_wait_dscnt 0x0
	s_barrier_signal -1
	s_barrier_wait -1
	s_delay_alu instid0(VALU_DEP_1)
	v_lshl_or_b32 v0, v211, 7, v0
	ds_load_b128 v[1:4], v0
	s_wait_dscnt 0x0
	buffer_store_b128 v[1:4], v5, s[0:3], null offen
	s_wait_dscnt 0x0
	s_barrier_signal -1
	s_barrier_wait -1
	scratch_load_b32 v1, off, off offset:544 th:TH_LOAD_LU ; 4-byte Folded Reload
	s_wait_loadcnt 0x0
	ds_store_b16 v73, v1
	scratch_load_b32 v1, off, off offset:576 th:TH_LOAD_LU ; 4-byte Folded Reload
	s_wait_loadcnt 0x0
	ds_store_b16 v73, v1 offset:128
	scratch_load_b32 v1, off, off offset:640 th:TH_LOAD_LU ; 4-byte Folded Reload
	s_wait_loadcnt 0x0
	ds_store_b16 v73, v1 offset:256
	;; [unrolled: 3-line block ×7, first 2 shown]
	s_wait_dscnt 0x0
	s_barrier_signal -1
	s_barrier_wait -1
	ds_load_b128 v[1:4], v0
	s_wait_dscnt 0x0
	buffer_store_b128 v[1:4], v5, s[0:3], null offen offset:128
	s_wait_dscnt 0x0
	s_barrier_signal -1
	s_barrier_wait -1
	scratch_load_b32 v1, off, off offset:800 th:TH_LOAD_LU ; 4-byte Folded Reload
	s_wait_loadcnt 0x0
	ds_store_b16 v73, v1
	scratch_load_b32 v1, off, off offset:832 th:TH_LOAD_LU ; 4-byte Folded Reload
	s_wait_loadcnt 0x0
	ds_store_b16 v73, v1 offset:128
	scratch_load_b32 v1, off, off offset:864 th:TH_LOAD_LU ; 4-byte Folded Reload
	s_wait_loadcnt 0x0
	ds_store_b16 v73, v1 offset:256
	;; [unrolled: 3-line block ×7, first 2 shown]
	s_wait_dscnt 0x0
	s_barrier_signal -1
	s_barrier_wait -1
	ds_load_b128 v[1:4], v0
	s_wait_dscnt 0x0
	buffer_store_b128 v[1:4], v5, s[0:3], null offen offset:256
	s_wait_dscnt 0x0
	s_barrier_signal -1
	s_barrier_wait -1
	ds_store_b16 v73, v233
	ds_store_b16 v73, v234 offset:128
	ds_store_b16 v73, v235 offset:256
	;; [unrolled: 1-line block ×7, first 2 shown]
	s_wait_dscnt 0x0
	s_barrier_signal -1
	s_barrier_wait -1
	ds_load_b128 v[1:4], v0
	s_wait_dscnt 0x0
	s_clause 0x1
	buffer_store_b64 v[1:2], v7, s[0:3], null offen
	buffer_store_b64 v[3:4], v5, s[0:3], null offen offset:392
	s_wait_dscnt 0x0
	s_barrier_signal -1
	s_barrier_wait -1
	scratch_load_b32 v1, off, off offset:992 th:TH_LOAD_LU ; 4-byte Folded Reload
	v_add_lshl_u32 v5, v6, s4, 1
	s_delay_alu instid0(VALU_DEP_1)
	v_add_nc_u32_e32 v6, 0xffffff80, v5
	s_wait_loadcnt 0x0
	ds_store_b16 v73, v1
	scratch_load_b32 v1, off, off offset:1008 th:TH_LOAD_LU ; 4-byte Folded Reload
	s_wait_loadcnt 0x0
	ds_store_b16 v73, v1 offset:128
	scratch_load_b32 v1, off, off offset:1024 th:TH_LOAD_LU ; 4-byte Folded Reload
	s_wait_loadcnt 0x0
	ds_store_b16 v73, v1 offset:256
	;; [unrolled: 3-line block ×7, first 2 shown]
	s_wait_dscnt 0x0
	s_barrier_signal -1
	s_barrier_wait -1
	ds_load_b128 v[1:4], v0
	s_wait_dscnt 0x0
	buffer_store_b128 v[1:4], v5, s[0:3], null offen
	s_wait_dscnt 0x0
	s_barrier_signal -1
	s_barrier_wait -1
	scratch_load_b32 v1, off, off offset:1152 th:TH_LOAD_LU ; 4-byte Folded Reload
	s_wait_loadcnt 0x0
	ds_store_b16 v73, v1
	scratch_load_b32 v1, off, off offset:1168 th:TH_LOAD_LU ; 4-byte Folded Reload
	s_wait_loadcnt 0x0
	ds_store_b16 v73, v1 offset:128
	scratch_load_b32 v1, off, off offset:1184 th:TH_LOAD_LU ; 4-byte Folded Reload
	s_wait_loadcnt 0x0
	ds_store_b16 v73, v1 offset:256
	;; [unrolled: 3-line block ×7, first 2 shown]
	s_wait_dscnt 0x0
	s_barrier_signal -1
	s_barrier_wait -1
	ds_load_b128 v[1:4], v0
	s_wait_dscnt 0x0
	buffer_store_b64 v[1:2], v6, s[0:3], null offen
	v_add_nc_u32_e32 v1, 0xffffff88, v5
	v_add_nc_u32_e32 v6, 0xffffff00, v5
	buffer_store_b64 v[3:4], v1, s[0:3], null offen
	s_wait_dscnt 0x0
	s_barrier_signal -1
	s_barrier_wait -1
	scratch_load_b32 v1, off, off offset:1280 th:TH_LOAD_LU ; 4-byte Folded Reload
	s_wait_loadcnt 0x0
	ds_store_b16 v73, v1
	scratch_load_b32 v1, off, off offset:1296 th:TH_LOAD_LU ; 4-byte Folded Reload
	s_wait_loadcnt 0x0
	ds_store_b16 v73, v1 offset:128
	scratch_load_b32 v1, off, off offset:1312 th:TH_LOAD_LU ; 4-byte Folded Reload
	s_wait_loadcnt 0x0
	ds_store_b16 v73, v1 offset:256
	;; [unrolled: 3-line block ×7, first 2 shown]
	s_wait_dscnt 0x0
	s_barrier_signal -1
	s_barrier_wait -1
	ds_load_b128 v[1:4], v0
	s_wait_dscnt 0x0
	buffer_store_b64 v[1:2], v6, s[0:3], null offen
	v_add_nc_u32_e32 v1, 0xffffff08, v5
	v_add_nc_u32_e32 v5, s4, v193
	buffer_store_b64 v[3:4], v1, s[0:3], null offen
	s_wait_dscnt 0x0
	s_barrier_signal -1
	s_barrier_wait -1
	scratch_load_b32 v1, off, off offset:1408 th:TH_LOAD_LU ; 4-byte Folded Reload
	ds_store_b16 v73, v153 offset:128
	ds_store_b16 v73, v145 offset:256
	ds_store_b16 v73, v69 offset:384
	ds_store_b16 v73, v70 offset:512
	ds_store_b16 v73, v71 offset:640
	ds_store_b16 v73, v72 offset:768
	ds_store_b16 v73, v157 offset:896
	v_lshlrev_b32_e32 v6, 1, v5
	v_add_nc_u32_e32 v5, s4, v5
	s_delay_alu instid0(VALU_DEP_1)
	v_add_nc_u32_e32 v7, 0xc0, v5
	s_wait_loadcnt 0x0
	ds_store_b16 v73, v1
	s_wait_dscnt 0x0
	s_barrier_signal -1
	s_barrier_wait -1
	ds_load_b128 v[1:4], v0
	s_wait_dscnt 0x0
	buffer_store_b128 v[1:4], v6, s[0:3], null offen
	s_wait_dscnt 0x0
	s_barrier_signal -1
	s_barrier_wait -1
	ds_store_b16 v73, v129
	ds_store_b16 v73, v65 offset:128
	ds_store_b16 v73, v66 offset:256
	;; [unrolled: 1-line block ×7, first 2 shown]
	s_wait_dscnt 0x0
	s_barrier_signal -1
	s_barrier_wait -1
	ds_load_b128 v[1:4], v0
	v_lshlrev_b32_e32 v6, 1, v5
	v_add_nc_u32_e32 v5, s4, v5
	s_wait_dscnt 0x0
	buffer_store_b128 v[1:4], v6, s[0:3], null offen
	s_wait_dscnt 0x0
	s_barrier_signal -1
	s_barrier_wait -1
	ds_store_b16 v73, v156
	ds_store_b16 v73, v131 offset:128
	ds_store_b16 v73, v146 offset:256
	;; [unrolled: 1-line block ×7, first 2 shown]
	s_wait_dscnt 0x0
	s_barrier_signal -1
	s_barrier_wait -1
	ds_load_b128 v[1:4], v0
	s_wait_dscnt 0x0
	buffer_store_b128 v[1:4], v6, s[0:3], null offen offset:128
	s_wait_dscnt 0x0
	s_barrier_signal -1
	s_barrier_wait -1
	ds_store_b16 v73, v152
	ds_store_b16 v73, v253 offset:128
	ds_store_b16 v73, v254 offset:256
	;; [unrolled: 1-line block ×7, first 2 shown]
	s_wait_dscnt 0x0
	s_barrier_signal -1
	s_barrier_wait -1
	ds_load_b128 v[1:4], v0
	s_wait_dscnt 0x0
	buffer_store_b128 v[1:4], v6, s[0:3], null offen offset:256
	s_wait_dscnt 0x0
	s_barrier_signal -1
	s_barrier_wait -1
	ds_store_b16 v73, v8
	ds_store_b16 v73, v114 offset:128
	ds_store_b16 v73, v115 offset:256
	;; [unrolled: 1-line block ×7, first 2 shown]
	s_wait_dscnt 0x0
	s_barrier_signal -1
	s_barrier_wait -1
	ds_load_b128 v[1:4], v0
	v_lshlrev_b32_e32 v8, 1, v7
	s_wait_dscnt 0x0
	s_clause 0x1
	buffer_store_b64 v[1:2], v8, s[0:3], null offen
	buffer_store_b64 v[3:4], v6, s[0:3], null offen offset:392
	s_wait_dscnt 0x0
	s_barrier_signal -1
	s_barrier_wait -1
	ds_store_b16 v73, v53
	ds_store_b16 v73, v54 offset:128
	ds_store_b16 v73, v55 offset:256
	ds_store_b16 v73, v56 offset:384
	ds_store_b16 v73, v33 offset:512
	ds_store_b16 v73, v34 offset:640
	ds_store_b16 v73, v35 offset:768
	ds_store_b16 v73, v116 offset:896
	s_wait_dscnt 0x0
	s_barrier_signal -1
	s_barrier_wait -1
	ds_load_b128 v[1:4], v0
	v_add_lshl_u32 v6, v7, s4, 1
	s_delay_alu instid0(VALU_DEP_1)
	v_add_nc_u32_e32 v7, 0xffffff80, v6
	s_wait_dscnt 0x0
	buffer_store_b128 v[1:4], v6, s[0:3], null offen
	s_wait_dscnt 0x0
	s_barrier_signal -1
	s_barrier_wait -1
	ds_store_b16 v73, v109
	ds_store_b16 v73, v110 offset:128
	ds_store_b16 v73, v111 offset:256
	;; [unrolled: 1-line block ×7, first 2 shown]
	s_wait_dscnt 0x0
	s_barrier_signal -1
	s_barrier_wait -1
	ds_load_b128 v[1:4], v0
	s_wait_dscnt 0x0
	buffer_store_b64 v[1:2], v7, s[0:3], null offen
	v_add_nc_u32_e32 v1, 0xffffff88, v6
	v_add_nc_u32_e32 v7, 0xffffff00, v6
	buffer_store_b64 v[3:4], v1, s[0:3], null offen
	s_wait_dscnt 0x0
	s_barrier_signal -1
	s_barrier_wait -1
	ds_store_b16 v73, v125
	ds_store_b16 v73, v126 offset:128
	ds_store_b16 v73, v127 offset:256
	;; [unrolled: 1-line block ×7, first 2 shown]
	s_wait_dscnt 0x0
	s_barrier_signal -1
	s_barrier_wait -1
	ds_load_b128 v[1:4], v0
	s_wait_dscnt 0x0
	buffer_store_b64 v[1:2], v7, s[0:3], null offen
	v_add_nc_u32_e32 v1, 0xffffff08, v6
	v_lshlrev_b32_e32 v6, 1, v5
	v_add_nc_u32_e32 v5, s4, v5
	buffer_store_b64 v[3:4], v1, s[0:3], null offen
	s_wait_dscnt 0x0
	s_barrier_signal -1
	s_barrier_wait -1
	ds_store_b16 v73, v21
	ds_store_b16 v73, v22 offset:128
	ds_store_b16 v73, v23 offset:256
	;; [unrolled: 1-line block ×7, first 2 shown]
	s_wait_dscnt 0x0
	s_barrier_signal -1
	s_barrier_wait -1
	ds_load_b128 v[1:4], v0
	v_add_nc_u32_e32 v7, 0xc0, v5
	s_delay_alu instid0(VALU_DEP_1)
	v_lshlrev_b32_e32 v8, 1, v7
	s_wait_dscnt 0x0
	buffer_store_b128 v[1:4], v6, s[0:3], null offen
	s_wait_dscnt 0x0
	s_barrier_signal -1
	s_barrier_wait -1
	ds_store_b16 v73, v121
	ds_store_b16 v73, v122 offset:128
	ds_store_b16 v73, v123 offset:256
	;; [unrolled: 1-line block ×7, first 2 shown]
	s_wait_dscnt 0x0
	s_barrier_signal -1
	s_barrier_wait -1
	ds_load_b128 v[1:4], v0
	v_lshlrev_b32_e32 v6, 1, v5
	v_add_nc_u32_e32 v5, s4, v5
	s_wait_dscnt 0x0
	buffer_store_b128 v[1:4], v6, s[0:3], null offen
	s_wait_dscnt 0x0
	s_barrier_signal -1
	s_barrier_wait -1
	ds_store_b16 v73, v137
	ds_store_b16 v73, v138 offset:128
	ds_store_b16 v73, v139 offset:256
	;; [unrolled: 1-line block ×7, first 2 shown]
	s_wait_dscnt 0x0
	s_barrier_signal -1
	s_barrier_wait -1
	ds_load_b128 v[1:4], v0
	s_wait_dscnt 0x0
	buffer_store_b128 v[1:4], v6, s[0:3], null offen offset:128
	s_wait_dscnt 0x0
	s_barrier_signal -1
	s_barrier_wait -1
	ds_store_b16 v73, v105
	ds_store_b16 v73, v106 offset:128
	ds_store_b16 v73, v107 offset:256
	;; [unrolled: 1-line block ×7, first 2 shown]
	s_wait_dscnt 0x0
	s_barrier_signal -1
	s_barrier_wait -1
	ds_load_b128 v[1:4], v0
	s_wait_dscnt 0x0
	buffer_store_b128 v[1:4], v6, s[0:3], null offen offset:256
	s_wait_dscnt 0x0
	s_barrier_signal -1
	s_barrier_wait -1
	ds_store_b16 v73, v97
	ds_store_b16 v73, v98 offset:128
	ds_store_b16 v73, v99 offset:256
	ds_store_b16 v73, v100 offset:384
	ds_store_b16 v73, v101 offset:512
	ds_store_b16 v73, v102 offset:640
	ds_store_b16 v73, v103 offset:768
	ds_store_b16 v73, v104 offset:896
	s_wait_dscnt 0x0
	s_barrier_signal -1
	s_barrier_wait -1
	ds_load_b128 v[1:4], v0
	s_wait_dscnt 0x0
	s_clause 0x1
	buffer_store_b64 v[1:2], v8, s[0:3], null offen
	buffer_store_b64 v[3:4], v6, s[0:3], null offen offset:392
	s_wait_dscnt 0x0
	s_barrier_signal -1
	s_barrier_wait -1
	ds_store_b16 v73, v89
	ds_store_b16 v73, v90 offset:128
	ds_store_b16 v73, v91 offset:256
	;; [unrolled: 1-line block ×7, first 2 shown]
	s_wait_dscnt 0x0
	s_barrier_signal -1
	s_barrier_wait -1
	ds_load_b128 v[1:4], v0
	v_add_lshl_u32 v6, v7, s4, 1
	v_cvt_f16_f32_e64 v8, v182
	s_delay_alu instid0(VALU_DEP_2)
	v_add_nc_u32_e32 v7, 0xffffff80, v6
	s_wait_dscnt 0x0
	buffer_store_b128 v[1:4], v6, s[0:3], null offen
	s_wait_dscnt 0x0
	s_barrier_signal -1
	s_barrier_wait -1
	ds_store_b16 v73, v81
	ds_store_b16 v73, v82 offset:128
	ds_store_b16 v73, v83 offset:256
	;; [unrolled: 1-line block ×7, first 2 shown]
	s_wait_dscnt 0x0
	s_barrier_signal -1
	s_barrier_wait -1
	ds_load_b128 v[1:4], v0
	s_wait_dscnt 0x0
	buffer_store_b64 v[1:2], v7, s[0:3], null offen
	v_add_nc_u32_e32 v1, 0xffffff88, v6
	v_add_nc_u32_e32 v7, 0xffffff00, v6
	buffer_store_b64 v[3:4], v1, s[0:3], null offen
	s_wait_dscnt 0x0
	s_barrier_signal -1
	s_barrier_wait -1
	ds_store_b16 v73, v16
	ds_store_b16 v73, v74 offset:128
	ds_store_b16 v73, v75 offset:256
	;; [unrolled: 1-line block ×7, first 2 shown]
	s_wait_dscnt 0x0
	s_barrier_signal -1
	s_barrier_wait -1
	ds_load_b128 v[1:4], v0
	s_wait_dscnt 0x0
	buffer_store_b64 v[1:2], v7, s[0:3], null offen
	v_add_nc_u32_e32 v1, 0xffffff08, v6
	v_lshlrev_b32_e32 v6, 1, v5
	v_add_nc_u32_e32 v5, s4, v5
	v_cvt_f16_f32_e64 v7, v181
	buffer_store_b64 v[3:4], v1, s[0:3], null offen
	s_wait_dscnt 0x0
	s_barrier_signal -1
	s_barrier_wait -1
	ds_store_b16 v73, v9
	ds_store_b16 v73, v10 offset:128
	ds_store_b16 v73, v11 offset:256
	;; [unrolled: 1-line block ×7, first 2 shown]
	s_wait_dscnt 0x0
	s_barrier_signal -1
	s_barrier_wait -1
	ds_load_b128 v[1:4], v0
	v_cvt_f16_f32_e64 v9, v183
	v_cvt_f16_f32_e64 v10, v184
	s_wait_dscnt 0x0
	buffer_store_b128 v[1:4], v6, s[0:3], null offen
	s_wait_dscnt 0x0
	s_barrier_signal -1
	s_barrier_wait -1
	ds_store_b16 v73, v195
	ds_store_b16 v73, v196 offset:128
	ds_store_b16 v73, v197 offset:256
	;; [unrolled: 1-line block ×7, first 2 shown]
	s_wait_dscnt 0x0
	s_barrier_signal -1
	s_barrier_wait -1
	ds_load_b128 v[1:4], v0
	v_lshlrev_b32_e32 v6, 1, v5
	s_wait_dscnt 0x0
	buffer_store_b128 v[1:4], v6, s[0:3], null offen
	s_wait_dscnt 0x0
	s_barrier_signal -1
	s_barrier_wait -1
	ds_store_b16 v73, v203
	ds_store_b16 v73, v204 offset:128
	ds_store_b16 v73, v205 offset:256
	;; [unrolled: 1-line block ×7, first 2 shown]
	s_wait_dscnt 0x0
	s_barrier_signal -1
	s_barrier_wait -1
	ds_load_b128 v[1:4], v0
	s_wait_dscnt 0x0
	buffer_store_b128 v[1:4], v6, s[0:3], null offen offset:128
	v_cvt_f16_f32_e64 v1, v177
	v_cvt_f16_f32_e64 v2, v178
	;; [unrolled: 1-line block ×4, first 2 shown]
	s_wait_dscnt 0x0
	s_barrier_signal -1
	s_barrier_wait -1
	ds_store_b16 v73, v1
	ds_store_b16 v73, v2 offset:128
	ds_store_b16 v73, v3 offset:256
	;; [unrolled: 1-line block ×7, first 2 shown]
	s_wait_dscnt 0x0
	s_barrier_signal -1
	s_barrier_wait -1
	ds_load_b128 v[1:4], v0
	s_wait_dscnt 0x0
	buffer_store_b128 v[1:4], v6, s[0:3], null offen offset:256
	s_wait_dscnt 0x0
	s_barrier_signal -1
	s_barrier_wait -1
	s_clause 0x1
	scratch_load_b128 v[7:10], off, off offset:64 th:TH_LOAD_LU
	scratch_load_b128 v[11:14], off, off offset:80 th:TH_LOAD_LU
	s_wait_loadcnt 0x1
	v_cvt_f16_f32_e32 v1, v7
	v_cvt_f16_f32_e32 v2, v8
	;; [unrolled: 1-line block ×4, first 2 shown]
	s_wait_loadcnt 0x0
	v_cvt_f16_f32_e32 v7, v11
	v_cvt_f16_f32_e32 v8, v12
	v_cvt_f16_f32_e32 v9, v13
	v_cvt_f16_f32_e32 v10, v14
	ds_store_b16 v73, v1
	ds_store_b16 v73, v2 offset:128
	ds_store_b16 v73, v3 offset:256
	;; [unrolled: 1-line block ×7, first 2 shown]
	s_wait_dscnt 0x0
	s_barrier_signal -1
	s_barrier_wait -1
	ds_load_b128 v[1:4], v0
	v_add_nc_u32_e32 v7, 0xc0, v5
	s_delay_alu instid0(VALU_DEP_1)
	v_lshlrev_b32_e32 v8, 1, v7
	s_wait_dscnt 0x0
	s_clause 0x1
	buffer_store_b64 v[1:2], v8, s[0:3], null offen
	buffer_store_b64 v[3:4], v6, s[0:3], null offen offset:392
	s_wait_dscnt 0x0
	s_barrier_signal -1
	s_barrier_wait -1
	s_clause 0x1
	scratch_load_b128 v[8:11], off, off offset:192 th:TH_LOAD_LU
	scratch_load_b128 v[12:15], off, off offset:208 th:TH_LOAD_LU
	s_wait_loadcnt 0x1
	v_cvt_f16_f32_e32 v1, v8
	v_cvt_f16_f32_e32 v2, v9
	;; [unrolled: 1-line block ×4, first 2 shown]
	s_wait_loadcnt 0x0
	v_cvt_f16_f32_e32 v6, v12
	v_cvt_f16_f32_e32 v8, v13
	v_cvt_f16_f32_e32 v9, v14
	v_cvt_f16_f32_e32 v10, v15
	ds_store_b16 v73, v1
	ds_store_b16 v73, v2 offset:128
	ds_store_b16 v73, v3 offset:256
	;; [unrolled: 1-line block ×7, first 2 shown]
	s_wait_dscnt 0x0
	s_barrier_signal -1
	s_barrier_wait -1
	ds_load_b128 v[1:4], v0
	v_add_lshl_u32 v6, v7, s4, 1
	s_wait_dscnt 0x0
	buffer_store_b128 v[1:4], v6, s[0:3], null offen
	s_wait_dscnt 0x0
	s_barrier_signal -1
	s_barrier_wait -1
	s_clause 0x1
	scratch_load_b128 v[7:10], off, off offset:224 th:TH_LOAD_LU
	scratch_load_b128 v[11:14], off, off offset:240 th:TH_LOAD_LU
	s_wait_loadcnt 0x1
	v_cvt_f16_f32_e32 v1, v7
	v_cvt_f16_f32_e32 v2, v8
	v_cvt_f16_f32_e32 v3, v9
	v_cvt_f16_f32_e32 v4, v10
	s_wait_loadcnt 0x0
	v_cvt_f16_f32_e32 v7, v11
	v_cvt_f16_f32_e32 v8, v12
	;; [unrolled: 1-line block ×4, first 2 shown]
	ds_store_b16 v73, v1
	ds_store_b16 v73, v2 offset:128
	ds_store_b16 v73, v3 offset:256
	;; [unrolled: 1-line block ×7, first 2 shown]
	s_wait_dscnt 0x0
	s_barrier_signal -1
	s_barrier_wait -1
	ds_load_b128 v[1:4], v0
	v_add_nc_u32_e32 v7, 0xffffff80, v6
	v_add_nc_u32_e32 v8, 0xffffff88, v6
	s_wait_dscnt 0x0
	s_clause 0x1
	buffer_store_b64 v[1:2], v7, s[0:3], null offen
	buffer_store_b64 v[3:4], v8, s[0:3], null offen
	s_wait_dscnt 0x0
	s_barrier_signal -1
	s_barrier_wait -1
	s_clause 0x1
	scratch_load_b128 v[109:112], off, off offset:32 th:TH_LOAD_LU
	scratch_load_b128 v[113:116], off, off offset:48 th:TH_LOAD_LU
	s_wait_loadcnt 0x1
	v_cvt_f16_f32_e32 v1, v109
	v_cvt_f16_f32_e32 v2, v110
	;; [unrolled: 1-line block ×4, first 2 shown]
	s_wait_loadcnt 0x0
	v_cvt_f16_f32_e32 v7, v113
	v_cvt_f16_f32_e32 v8, v114
	;; [unrolled: 1-line block ×4, first 2 shown]
	ds_store_b16 v73, v1
	ds_store_b16 v73, v2 offset:128
	ds_store_b16 v73, v3 offset:256
	;; [unrolled: 1-line block ×7, first 2 shown]
	s_wait_dscnt 0x0
	s_barrier_signal -1
	s_barrier_wait -1
	ds_load_b128 v[1:4], v0
	v_add_nc_u32_e32 v7, 0xffffff00, v6
	v_add_nc_u32_e32 v6, 0xffffff08, v6
	s_wait_dscnt 0x0
	s_clause 0x1
	buffer_store_b64 v[1:2], v7, s[0:3], null offen
	buffer_store_b64 v[3:4], v6, s[0:3], null offen
	s_wait_dscnt 0x0
	s_barrier_signal -1
	s_barrier_wait -1
	s_clause 0x1
	scratch_load_b128 v[6:9], off, off offset:96 th:TH_LOAD_LU
	scratch_load_b128 v[10:13], off, off offset:112 th:TH_LOAD_LU
	s_wait_loadcnt 0x1
	v_cvt_f16_f32_e32 v1, v6
	v_cvt_f16_f32_e32 v2, v7
	;; [unrolled: 1-line block ×4, first 2 shown]
	s_wait_loadcnt 0x0
	v_cvt_f16_f32_e32 v6, v10
	v_cvt_f16_f32_e32 v7, v11
	;; [unrolled: 1-line block ×4, first 2 shown]
	ds_store_b16 v73, v1
	ds_store_b16 v73, v2 offset:128
	ds_store_b16 v73, v3 offset:256
	;; [unrolled: 1-line block ×7, first 2 shown]
	s_wait_dscnt 0x0
	s_barrier_signal -1
	s_barrier_wait -1
	ds_load_b128 v[0:3], v0
	v_add_lshl_u32 v4, v5, s4, 1
	s_wait_dscnt 0x0
	buffer_store_b128 v[0:3], v4, s[0:3], null offen
	s_nop 0
	s_sendmsg sendmsg(MSG_DEALLOC_VGPRS)
	s_endpgm
	.section	.rodata,"a",@progbits
	.p2align	6, 0x0
	.amdhsa_kernel _ZN2ck27kernel_gemm_xdl_cshuffle_v2INS_28GridwiseGemm_xdl_cshuffle_v2INS_13tensor_layout4gemm8RowMajorES4_S4_DF16_DF16_fDF16_DF16_NS_16tensor_operation12element_wise11PassThroughES7_S7_LNS5_6device18GemmSpecializationE0ELNS_25InMemoryDataOperationEnumE0ELi2ELi256ELi256ELi256ELi32ELi8ELi4ELi16ELi16ELi8ELi4ENS_8SequenceIJLi4ELi64ELi1EEEENSB_IJLi1ELi0ELi2EEEESD_Li2ELi8ELi8ELb0ELi0ENSB_IJLi8ELi32ELi1EEEENSB_IJLi0ELi2ELi1EEEESF_Li1ELi8ELi4ELb0ELi0ELi1ELi1ENSB_IJLi1ELi32ELi1ELi8EEEELi4ELNS_13LoopSchedulerE0ELNS_15PipelineVersionE0EDF16_DF16_EELb1ELi2EEEvNT_8ArgumentE
		.amdhsa_group_segment_fixed_size 65536
		.amdhsa_private_segment_fixed_size 1592
		.amdhsa_kernarg_size 96
		.amdhsa_user_sgpr_count 2
		.amdhsa_user_sgpr_dispatch_ptr 0
		.amdhsa_user_sgpr_queue_ptr 0
		.amdhsa_user_sgpr_kernarg_segment_ptr 1
		.amdhsa_user_sgpr_dispatch_id 0
		.amdhsa_user_sgpr_private_segment_size 0
		.amdhsa_wavefront_size32 1
		.amdhsa_uses_dynamic_stack 0
		.amdhsa_enable_private_segment 1
		.amdhsa_system_sgpr_workgroup_id_x 1
		.amdhsa_system_sgpr_workgroup_id_y 0
		.amdhsa_system_sgpr_workgroup_id_z 0
		.amdhsa_system_sgpr_workgroup_info 0
		.amdhsa_system_vgpr_workitem_id 0
		.amdhsa_next_free_vgpr 256
		.amdhsa_next_free_sgpr 29
		.amdhsa_reserve_vcc 0
		.amdhsa_float_round_mode_32 0
		.amdhsa_float_round_mode_16_64 0
		.amdhsa_float_denorm_mode_32 3
		.amdhsa_float_denorm_mode_16_64 3
		.amdhsa_fp16_overflow 0
		.amdhsa_workgroup_processor_mode 1
		.amdhsa_memory_ordered 1
		.amdhsa_forward_progress 1
		.amdhsa_inst_pref_size 212
		.amdhsa_round_robin_scheduling 0
		.amdhsa_exception_fp_ieee_invalid_op 0
		.amdhsa_exception_fp_denorm_src 0
		.amdhsa_exception_fp_ieee_div_zero 0
		.amdhsa_exception_fp_ieee_overflow 0
		.amdhsa_exception_fp_ieee_underflow 0
		.amdhsa_exception_fp_ieee_inexact 0
		.amdhsa_exception_int_div_zero 0
	.end_amdhsa_kernel
	.section	.text._ZN2ck27kernel_gemm_xdl_cshuffle_v2INS_28GridwiseGemm_xdl_cshuffle_v2INS_13tensor_layout4gemm8RowMajorES4_S4_DF16_DF16_fDF16_DF16_NS_16tensor_operation12element_wise11PassThroughES7_S7_LNS5_6device18GemmSpecializationE0ELNS_25InMemoryDataOperationEnumE0ELi2ELi256ELi256ELi256ELi32ELi8ELi4ELi16ELi16ELi8ELi4ENS_8SequenceIJLi4ELi64ELi1EEEENSB_IJLi1ELi0ELi2EEEESD_Li2ELi8ELi8ELb0ELi0ENSB_IJLi8ELi32ELi1EEEENSB_IJLi0ELi2ELi1EEEESF_Li1ELi8ELi4ELb0ELi0ELi1ELi1ENSB_IJLi1ELi32ELi1ELi8EEEELi4ELNS_13LoopSchedulerE0ELNS_15PipelineVersionE0EDF16_DF16_EELb1ELi2EEEvNT_8ArgumentE,"axG",@progbits,_ZN2ck27kernel_gemm_xdl_cshuffle_v2INS_28GridwiseGemm_xdl_cshuffle_v2INS_13tensor_layout4gemm8RowMajorES4_S4_DF16_DF16_fDF16_DF16_NS_16tensor_operation12element_wise11PassThroughES7_S7_LNS5_6device18GemmSpecializationE0ELNS_25InMemoryDataOperationEnumE0ELi2ELi256ELi256ELi256ELi32ELi8ELi4ELi16ELi16ELi8ELi4ENS_8SequenceIJLi4ELi64ELi1EEEENSB_IJLi1ELi0ELi2EEEESD_Li2ELi8ELi8ELb0ELi0ENSB_IJLi8ELi32ELi1EEEENSB_IJLi0ELi2ELi1EEEESF_Li1ELi8ELi4ELb0ELi0ELi1ELi1ENSB_IJLi1ELi32ELi1ELi8EEEELi4ELNS_13LoopSchedulerE0ELNS_15PipelineVersionE0EDF16_DF16_EELb1ELi2EEEvNT_8ArgumentE,comdat
.Lfunc_end4:
	.size	_ZN2ck27kernel_gemm_xdl_cshuffle_v2INS_28GridwiseGemm_xdl_cshuffle_v2INS_13tensor_layout4gemm8RowMajorES4_S4_DF16_DF16_fDF16_DF16_NS_16tensor_operation12element_wise11PassThroughES7_S7_LNS5_6device18GemmSpecializationE0ELNS_25InMemoryDataOperationEnumE0ELi2ELi256ELi256ELi256ELi32ELi8ELi4ELi16ELi16ELi8ELi4ENS_8SequenceIJLi4ELi64ELi1EEEENSB_IJLi1ELi0ELi2EEEESD_Li2ELi8ELi8ELb0ELi0ENSB_IJLi8ELi32ELi1EEEENSB_IJLi0ELi2ELi1EEEESF_Li1ELi8ELi4ELb0ELi0ELi1ELi1ENSB_IJLi1ELi32ELi1ELi8EEEELi4ELNS_13LoopSchedulerE0ELNS_15PipelineVersionE0EDF16_DF16_EELb1ELi2EEEvNT_8ArgumentE, .Lfunc_end4-_ZN2ck27kernel_gemm_xdl_cshuffle_v2INS_28GridwiseGemm_xdl_cshuffle_v2INS_13tensor_layout4gemm8RowMajorES4_S4_DF16_DF16_fDF16_DF16_NS_16tensor_operation12element_wise11PassThroughES7_S7_LNS5_6device18GemmSpecializationE0ELNS_25InMemoryDataOperationEnumE0ELi2ELi256ELi256ELi256ELi32ELi8ELi4ELi16ELi16ELi8ELi4ENS_8SequenceIJLi4ELi64ELi1EEEENSB_IJLi1ELi0ELi2EEEESD_Li2ELi8ELi8ELb0ELi0ENSB_IJLi8ELi32ELi1EEEENSB_IJLi0ELi2ELi1EEEESF_Li1ELi8ELi4ELb0ELi0ELi1ELi1ENSB_IJLi1ELi32ELi1ELi8EEEELi4ELNS_13LoopSchedulerE0ELNS_15PipelineVersionE0EDF16_DF16_EELb1ELi2EEEvNT_8ArgumentE
                                        ; -- End function
	.set _ZN2ck27kernel_gemm_xdl_cshuffle_v2INS_28GridwiseGemm_xdl_cshuffle_v2INS_13tensor_layout4gemm8RowMajorES4_S4_DF16_DF16_fDF16_DF16_NS_16tensor_operation12element_wise11PassThroughES7_S7_LNS5_6device18GemmSpecializationE0ELNS_25InMemoryDataOperationEnumE0ELi2ELi256ELi256ELi256ELi32ELi8ELi4ELi16ELi16ELi8ELi4ENS_8SequenceIJLi4ELi64ELi1EEEENSB_IJLi1ELi0ELi2EEEESD_Li2ELi8ELi8ELb0ELi0ENSB_IJLi8ELi32ELi1EEEENSB_IJLi0ELi2ELi1EEEESF_Li1ELi8ELi4ELb0ELi0ELi1ELi1ENSB_IJLi1ELi32ELi1ELi8EEEELi4ELNS_13LoopSchedulerE0ELNS_15PipelineVersionE0EDF16_DF16_EELb1ELi2EEEvNT_8ArgumentE.num_vgpr, 256
	.set _ZN2ck27kernel_gemm_xdl_cshuffle_v2INS_28GridwiseGemm_xdl_cshuffle_v2INS_13tensor_layout4gemm8RowMajorES4_S4_DF16_DF16_fDF16_DF16_NS_16tensor_operation12element_wise11PassThroughES7_S7_LNS5_6device18GemmSpecializationE0ELNS_25InMemoryDataOperationEnumE0ELi2ELi256ELi256ELi256ELi32ELi8ELi4ELi16ELi16ELi8ELi4ENS_8SequenceIJLi4ELi64ELi1EEEENSB_IJLi1ELi0ELi2EEEESD_Li2ELi8ELi8ELb0ELi0ENSB_IJLi8ELi32ELi1EEEENSB_IJLi0ELi2ELi1EEEESF_Li1ELi8ELi4ELb0ELi0ELi1ELi1ENSB_IJLi1ELi32ELi1ELi8EEEELi4ELNS_13LoopSchedulerE0ELNS_15PipelineVersionE0EDF16_DF16_EELb1ELi2EEEvNT_8ArgumentE.num_agpr, 0
	.set _ZN2ck27kernel_gemm_xdl_cshuffle_v2INS_28GridwiseGemm_xdl_cshuffle_v2INS_13tensor_layout4gemm8RowMajorES4_S4_DF16_DF16_fDF16_DF16_NS_16tensor_operation12element_wise11PassThroughES7_S7_LNS5_6device18GemmSpecializationE0ELNS_25InMemoryDataOperationEnumE0ELi2ELi256ELi256ELi256ELi32ELi8ELi4ELi16ELi16ELi8ELi4ENS_8SequenceIJLi4ELi64ELi1EEEENSB_IJLi1ELi0ELi2EEEESD_Li2ELi8ELi8ELb0ELi0ENSB_IJLi8ELi32ELi1EEEENSB_IJLi0ELi2ELi1EEEESF_Li1ELi8ELi4ELb0ELi0ELi1ELi1ENSB_IJLi1ELi32ELi1ELi8EEEELi4ELNS_13LoopSchedulerE0ELNS_15PipelineVersionE0EDF16_DF16_EELb1ELi2EEEvNT_8ArgumentE.numbered_sgpr, 29
	.set _ZN2ck27kernel_gemm_xdl_cshuffle_v2INS_28GridwiseGemm_xdl_cshuffle_v2INS_13tensor_layout4gemm8RowMajorES4_S4_DF16_DF16_fDF16_DF16_NS_16tensor_operation12element_wise11PassThroughES7_S7_LNS5_6device18GemmSpecializationE0ELNS_25InMemoryDataOperationEnumE0ELi2ELi256ELi256ELi256ELi32ELi8ELi4ELi16ELi16ELi8ELi4ENS_8SequenceIJLi4ELi64ELi1EEEENSB_IJLi1ELi0ELi2EEEESD_Li2ELi8ELi8ELb0ELi0ENSB_IJLi8ELi32ELi1EEEENSB_IJLi0ELi2ELi1EEEESF_Li1ELi8ELi4ELb0ELi0ELi1ELi1ENSB_IJLi1ELi32ELi1ELi8EEEELi4ELNS_13LoopSchedulerE0ELNS_15PipelineVersionE0EDF16_DF16_EELb1ELi2EEEvNT_8ArgumentE.num_named_barrier, 0
	.set _ZN2ck27kernel_gemm_xdl_cshuffle_v2INS_28GridwiseGemm_xdl_cshuffle_v2INS_13tensor_layout4gemm8RowMajorES4_S4_DF16_DF16_fDF16_DF16_NS_16tensor_operation12element_wise11PassThroughES7_S7_LNS5_6device18GemmSpecializationE0ELNS_25InMemoryDataOperationEnumE0ELi2ELi256ELi256ELi256ELi32ELi8ELi4ELi16ELi16ELi8ELi4ENS_8SequenceIJLi4ELi64ELi1EEEENSB_IJLi1ELi0ELi2EEEESD_Li2ELi8ELi8ELb0ELi0ENSB_IJLi8ELi32ELi1EEEENSB_IJLi0ELi2ELi1EEEESF_Li1ELi8ELi4ELb0ELi0ELi1ELi1ENSB_IJLi1ELi32ELi1ELi8EEEELi4ELNS_13LoopSchedulerE0ELNS_15PipelineVersionE0EDF16_DF16_EELb1ELi2EEEvNT_8ArgumentE.private_seg_size, 1592
	.set _ZN2ck27kernel_gemm_xdl_cshuffle_v2INS_28GridwiseGemm_xdl_cshuffle_v2INS_13tensor_layout4gemm8RowMajorES4_S4_DF16_DF16_fDF16_DF16_NS_16tensor_operation12element_wise11PassThroughES7_S7_LNS5_6device18GemmSpecializationE0ELNS_25InMemoryDataOperationEnumE0ELi2ELi256ELi256ELi256ELi32ELi8ELi4ELi16ELi16ELi8ELi4ENS_8SequenceIJLi4ELi64ELi1EEEENSB_IJLi1ELi0ELi2EEEESD_Li2ELi8ELi8ELb0ELi0ENSB_IJLi8ELi32ELi1EEEENSB_IJLi0ELi2ELi1EEEESF_Li1ELi8ELi4ELb0ELi0ELi1ELi1ENSB_IJLi1ELi32ELi1ELi8EEEELi4ELNS_13LoopSchedulerE0ELNS_15PipelineVersionE0EDF16_DF16_EELb1ELi2EEEvNT_8ArgumentE.uses_vcc, 0
	.set _ZN2ck27kernel_gemm_xdl_cshuffle_v2INS_28GridwiseGemm_xdl_cshuffle_v2INS_13tensor_layout4gemm8RowMajorES4_S4_DF16_DF16_fDF16_DF16_NS_16tensor_operation12element_wise11PassThroughES7_S7_LNS5_6device18GemmSpecializationE0ELNS_25InMemoryDataOperationEnumE0ELi2ELi256ELi256ELi256ELi32ELi8ELi4ELi16ELi16ELi8ELi4ENS_8SequenceIJLi4ELi64ELi1EEEENSB_IJLi1ELi0ELi2EEEESD_Li2ELi8ELi8ELb0ELi0ENSB_IJLi8ELi32ELi1EEEENSB_IJLi0ELi2ELi1EEEESF_Li1ELi8ELi4ELb0ELi0ELi1ELi1ENSB_IJLi1ELi32ELi1ELi8EEEELi4ELNS_13LoopSchedulerE0ELNS_15PipelineVersionE0EDF16_DF16_EELb1ELi2EEEvNT_8ArgumentE.uses_flat_scratch, 1
	.set _ZN2ck27kernel_gemm_xdl_cshuffle_v2INS_28GridwiseGemm_xdl_cshuffle_v2INS_13tensor_layout4gemm8RowMajorES4_S4_DF16_DF16_fDF16_DF16_NS_16tensor_operation12element_wise11PassThroughES7_S7_LNS5_6device18GemmSpecializationE0ELNS_25InMemoryDataOperationEnumE0ELi2ELi256ELi256ELi256ELi32ELi8ELi4ELi16ELi16ELi8ELi4ENS_8SequenceIJLi4ELi64ELi1EEEENSB_IJLi1ELi0ELi2EEEESD_Li2ELi8ELi8ELb0ELi0ENSB_IJLi8ELi32ELi1EEEENSB_IJLi0ELi2ELi1EEEESF_Li1ELi8ELi4ELb0ELi0ELi1ELi1ENSB_IJLi1ELi32ELi1ELi8EEEELi4ELNS_13LoopSchedulerE0ELNS_15PipelineVersionE0EDF16_DF16_EELb1ELi2EEEvNT_8ArgumentE.has_dyn_sized_stack, 0
	.set _ZN2ck27kernel_gemm_xdl_cshuffle_v2INS_28GridwiseGemm_xdl_cshuffle_v2INS_13tensor_layout4gemm8RowMajorES4_S4_DF16_DF16_fDF16_DF16_NS_16tensor_operation12element_wise11PassThroughES7_S7_LNS5_6device18GemmSpecializationE0ELNS_25InMemoryDataOperationEnumE0ELi2ELi256ELi256ELi256ELi32ELi8ELi4ELi16ELi16ELi8ELi4ENS_8SequenceIJLi4ELi64ELi1EEEENSB_IJLi1ELi0ELi2EEEESD_Li2ELi8ELi8ELb0ELi0ENSB_IJLi8ELi32ELi1EEEENSB_IJLi0ELi2ELi1EEEESF_Li1ELi8ELi4ELb0ELi0ELi1ELi1ENSB_IJLi1ELi32ELi1ELi8EEEELi4ELNS_13LoopSchedulerE0ELNS_15PipelineVersionE0EDF16_DF16_EELb1ELi2EEEvNT_8ArgumentE.has_recursion, 0
	.set _ZN2ck27kernel_gemm_xdl_cshuffle_v2INS_28GridwiseGemm_xdl_cshuffle_v2INS_13tensor_layout4gemm8RowMajorES4_S4_DF16_DF16_fDF16_DF16_NS_16tensor_operation12element_wise11PassThroughES7_S7_LNS5_6device18GemmSpecializationE0ELNS_25InMemoryDataOperationEnumE0ELi2ELi256ELi256ELi256ELi32ELi8ELi4ELi16ELi16ELi8ELi4ENS_8SequenceIJLi4ELi64ELi1EEEENSB_IJLi1ELi0ELi2EEEESD_Li2ELi8ELi8ELb0ELi0ENSB_IJLi8ELi32ELi1EEEENSB_IJLi0ELi2ELi1EEEESF_Li1ELi8ELi4ELb0ELi0ELi1ELi1ENSB_IJLi1ELi32ELi1ELi8EEEELi4ELNS_13LoopSchedulerE0ELNS_15PipelineVersionE0EDF16_DF16_EELb1ELi2EEEvNT_8ArgumentE.has_indirect_call, 0
	.section	.AMDGPU.csdata,"",@progbits
; Kernel info:
; codeLenInByte = 27136
; TotalNumSgprs: 29
; NumVgprs: 256
; ScratchSize: 1592
; MemoryBound: 0
; FloatMode: 240
; IeeeMode: 1
; LDSByteSize: 65536 bytes/workgroup (compile time only)
; SGPRBlocks: 0
; VGPRBlocks: 31
; NumSGPRsForWavesPerEU: 29
; NumVGPRsForWavesPerEU: 256
; Occupancy: 4
; WaveLimiterHint : 0
; COMPUTE_PGM_RSRC2:SCRATCH_EN: 1
; COMPUTE_PGM_RSRC2:USER_SGPR: 2
; COMPUTE_PGM_RSRC2:TRAP_HANDLER: 0
; COMPUTE_PGM_RSRC2:TGID_X_EN: 1
; COMPUTE_PGM_RSRC2:TGID_Y_EN: 0
; COMPUTE_PGM_RSRC2:TGID_Z_EN: 0
; COMPUTE_PGM_RSRC2:TIDIG_COMP_CNT: 0
	.section	.text._ZN2ck17naive_gemm_kernelINS_13tensor_layout4gemm8RowMajorES3_S3_DF16_DF16_DF16_fNS_16tensor_operation12element_wise11PassThroughES6_S6_DF16_DF16_EEvPKT2_PKT3_PT4_iiiT6_T7_T8_,"axG",@progbits,_ZN2ck17naive_gemm_kernelINS_13tensor_layout4gemm8RowMajorES3_S3_DF16_DF16_DF16_fNS_16tensor_operation12element_wise11PassThroughES6_S6_DF16_DF16_EEvPKT2_PKT3_PT4_iiiT6_T7_T8_,comdat
	.protected	_ZN2ck17naive_gemm_kernelINS_13tensor_layout4gemm8RowMajorES3_S3_DF16_DF16_DF16_fNS_16tensor_operation12element_wise11PassThroughES6_S6_DF16_DF16_EEvPKT2_PKT3_PT4_iiiT6_T7_T8_ ; -- Begin function _ZN2ck17naive_gemm_kernelINS_13tensor_layout4gemm8RowMajorES3_S3_DF16_DF16_DF16_fNS_16tensor_operation12element_wise11PassThroughES6_S6_DF16_DF16_EEvPKT2_PKT3_PT4_iiiT6_T7_T8_
	.globl	_ZN2ck17naive_gemm_kernelINS_13tensor_layout4gemm8RowMajorES3_S3_DF16_DF16_DF16_fNS_16tensor_operation12element_wise11PassThroughES6_S6_DF16_DF16_EEvPKT2_PKT3_PT4_iiiT6_T7_T8_
	.p2align	8
	.type	_ZN2ck17naive_gemm_kernelINS_13tensor_layout4gemm8RowMajorES3_S3_DF16_DF16_DF16_fNS_16tensor_operation12element_wise11PassThroughES6_S6_DF16_DF16_EEvPKT2_PKT3_PT4_iiiT6_T7_T8_,@function
_ZN2ck17naive_gemm_kernelINS_13tensor_layout4gemm8RowMajorES3_S3_DF16_DF16_DF16_fNS_16tensor_operation12element_wise11PassThroughES6_S6_DF16_DF16_EEvPKT2_PKT3_PT4_iiiT6_T7_T8_: ; @_ZN2ck17naive_gemm_kernelINS_13tensor_layout4gemm8RowMajorES3_S3_DF16_DF16_DF16_fNS_16tensor_operation12element_wise11PassThroughES6_S6_DF16_DF16_EEvPKT2_PKT3_PT4_iiiT6_T7_T8_
; %bb.0:
	s_clause 0x1
	s_load_b32 s2, s[0:1], 0x34
	s_load_b96 s[4:6], s[0:1], 0x18
	v_and_b32_e32 v1, 0x3ff, v0
	v_bfe_u32 v2, v0, 10, 10
	s_wait_kmcnt 0x0
	s_lshr_b32 s3, s2, 16
	s_and_b32 s2, s2, 0xffff
	s_delay_alu instid0(VALU_DEP_1) | instid1(SALU_CYCLE_1)
	v_mad_co_u64_u32 v[0:1], null, ttmp9, s2, v[1:2]
	v_mad_co_u64_u32 v[1:2], null, ttmp7, s3, v[2:3]
	s_delay_alu instid0(VALU_DEP_2) | instskip(NEXT) | instid1(VALU_DEP_2)
	v_cmp_gt_i32_e32 vcc_lo, s4, v0
	v_cmp_gt_i32_e64 s2, s5, v1
	s_and_b32 s2, vcc_lo, s2
	s_wait_alu 0xfffe
	s_and_saveexec_b32 s3, s2
	s_cbranch_execz .LBB5_7
; %bb.1:
	s_load_b64 s[8:9], s[0:1], 0x10
	s_cmp_lt_i32 s6, 1
	s_cbranch_scc1 .LBB5_5
; %bb.2:
	s_load_b128 s[0:3], s[0:1], 0x0
	v_mul_lo_u32 v2, v0, s6
	v_mov_b32_e32 v6, 0
	v_mov_b32_e32 v4, v1
	s_delay_alu instid0(VALU_DEP_3) | instskip(NEXT) | instid1(VALU_DEP_1)
	v_ashrrev_i32_e32 v3, 31, v2
	v_lshlrev_b64_e32 v[2:3], 1, v[2:3]
	s_wait_kmcnt 0x0
	s_delay_alu instid0(VALU_DEP_1) | instskip(NEXT) | instid1(VALU_DEP_1)
	v_add_co_u32 v2, vcc_lo, s0, v2
	v_add_co_ci_u32_e64 v3, null, s1, v3, vcc_lo
.LBB5_3:                                ; =>This Inner Loop Header: Depth=1
	v_ashrrev_i32_e32 v5, 31, v4
	s_add_co_i32 s6, s6, -1
	s_wait_alu 0xfffe
	s_cmp_eq_u32 s6, 0
	s_delay_alu instid0(VALU_DEP_1) | instskip(SKIP_1) | instid1(VALU_DEP_2)
	v_lshlrev_b64_e32 v[7:8], 1, v[4:5]
	v_add_nc_u32_e32 v4, s5, v4
	v_add_co_u32 v7, vcc_lo, s2, v7
	s_wait_alu 0xfffd
	s_delay_alu instid0(VALU_DEP_3)
	v_add_co_ci_u32_e64 v8, null, s3, v8, vcc_lo
	global_load_u16 v5, v[2:3], off
	global_load_u16 v7, v[7:8], off
	v_add_co_u32 v2, vcc_lo, v2, 2
	s_wait_alu 0xfffd
	v_add_co_ci_u32_e64 v3, null, 0, v3, vcc_lo
	s_wait_loadcnt 0x0
	v_fma_mix_f32 v6, v5, v7, v6 op_sel_hi:[1,1,0]
	s_cbranch_scc0 .LBB5_3
; %bb.4:
	s_delay_alu instid0(VALU_DEP_1)
	v_cvt_f16_f32_e32 v2, v6
	s_branch .LBB5_6
.LBB5_5:
	v_mov_b32_e32 v2, 0
.LBB5_6:
	s_delay_alu instid0(VALU_DEP_1) | instskip(NEXT) | instid1(VALU_DEP_1)
	v_mad_co_u64_u32 v[0:1], null, v0, s5, v[1:2]
	v_ashrrev_i32_e32 v1, 31, v0
	s_delay_alu instid0(VALU_DEP_1) | instskip(SKIP_1) | instid1(VALU_DEP_1)
	v_lshlrev_b64_e32 v[0:1], 1, v[0:1]
	s_wait_kmcnt 0x0
	v_add_co_u32 v0, vcc_lo, s8, v0
	s_wait_alu 0xfffd
	s_delay_alu instid0(VALU_DEP_2)
	v_add_co_ci_u32_e64 v1, null, s9, v1, vcc_lo
	global_store_b16 v[0:1], v2, off
.LBB5_7:
	s_endpgm
	.section	.rodata,"a",@progbits
	.p2align	6, 0x0
	.amdhsa_kernel _ZN2ck17naive_gemm_kernelINS_13tensor_layout4gemm8RowMajorES3_S3_DF16_DF16_DF16_fNS_16tensor_operation12element_wise11PassThroughES6_S6_DF16_DF16_EEvPKT2_PKT3_PT4_iiiT6_T7_T8_
		.amdhsa_group_segment_fixed_size 0
		.amdhsa_private_segment_fixed_size 0
		.amdhsa_kernarg_size 296
		.amdhsa_user_sgpr_count 2
		.amdhsa_user_sgpr_dispatch_ptr 0
		.amdhsa_user_sgpr_queue_ptr 0
		.amdhsa_user_sgpr_kernarg_segment_ptr 1
		.amdhsa_user_sgpr_dispatch_id 0
		.amdhsa_user_sgpr_private_segment_size 0
		.amdhsa_wavefront_size32 1
		.amdhsa_uses_dynamic_stack 0
		.amdhsa_enable_private_segment 0
		.amdhsa_system_sgpr_workgroup_id_x 1
		.amdhsa_system_sgpr_workgroup_id_y 1
		.amdhsa_system_sgpr_workgroup_id_z 0
		.amdhsa_system_sgpr_workgroup_info 0
		.amdhsa_system_vgpr_workitem_id 1
		.amdhsa_next_free_vgpr 9
		.amdhsa_next_free_sgpr 10
		.amdhsa_reserve_vcc 1
		.amdhsa_float_round_mode_32 0
		.amdhsa_float_round_mode_16_64 0
		.amdhsa_float_denorm_mode_32 3
		.amdhsa_float_denorm_mode_16_64 3
		.amdhsa_fp16_overflow 0
		.amdhsa_workgroup_processor_mode 1
		.amdhsa_memory_ordered 1
		.amdhsa_forward_progress 1
		.amdhsa_inst_pref_size 3
		.amdhsa_round_robin_scheduling 0
		.amdhsa_exception_fp_ieee_invalid_op 0
		.amdhsa_exception_fp_denorm_src 0
		.amdhsa_exception_fp_ieee_div_zero 0
		.amdhsa_exception_fp_ieee_overflow 0
		.amdhsa_exception_fp_ieee_underflow 0
		.amdhsa_exception_fp_ieee_inexact 0
		.amdhsa_exception_int_div_zero 0
	.end_amdhsa_kernel
	.section	.text._ZN2ck17naive_gemm_kernelINS_13tensor_layout4gemm8RowMajorES3_S3_DF16_DF16_DF16_fNS_16tensor_operation12element_wise11PassThroughES6_S6_DF16_DF16_EEvPKT2_PKT3_PT4_iiiT6_T7_T8_,"axG",@progbits,_ZN2ck17naive_gemm_kernelINS_13tensor_layout4gemm8RowMajorES3_S3_DF16_DF16_DF16_fNS_16tensor_operation12element_wise11PassThroughES6_S6_DF16_DF16_EEvPKT2_PKT3_PT4_iiiT6_T7_T8_,comdat
.Lfunc_end5:
	.size	_ZN2ck17naive_gemm_kernelINS_13tensor_layout4gemm8RowMajorES3_S3_DF16_DF16_DF16_fNS_16tensor_operation12element_wise11PassThroughES6_S6_DF16_DF16_EEvPKT2_PKT3_PT4_iiiT6_T7_T8_, .Lfunc_end5-_ZN2ck17naive_gemm_kernelINS_13tensor_layout4gemm8RowMajorES3_S3_DF16_DF16_DF16_fNS_16tensor_operation12element_wise11PassThroughES6_S6_DF16_DF16_EEvPKT2_PKT3_PT4_iiiT6_T7_T8_
                                        ; -- End function
	.set _ZN2ck17naive_gemm_kernelINS_13tensor_layout4gemm8RowMajorES3_S3_DF16_DF16_DF16_fNS_16tensor_operation12element_wise11PassThroughES6_S6_DF16_DF16_EEvPKT2_PKT3_PT4_iiiT6_T7_T8_.num_vgpr, 9
	.set _ZN2ck17naive_gemm_kernelINS_13tensor_layout4gemm8RowMajorES3_S3_DF16_DF16_DF16_fNS_16tensor_operation12element_wise11PassThroughES6_S6_DF16_DF16_EEvPKT2_PKT3_PT4_iiiT6_T7_T8_.num_agpr, 0
	.set _ZN2ck17naive_gemm_kernelINS_13tensor_layout4gemm8RowMajorES3_S3_DF16_DF16_DF16_fNS_16tensor_operation12element_wise11PassThroughES6_S6_DF16_DF16_EEvPKT2_PKT3_PT4_iiiT6_T7_T8_.numbered_sgpr, 10
	.set _ZN2ck17naive_gemm_kernelINS_13tensor_layout4gemm8RowMajorES3_S3_DF16_DF16_DF16_fNS_16tensor_operation12element_wise11PassThroughES6_S6_DF16_DF16_EEvPKT2_PKT3_PT4_iiiT6_T7_T8_.num_named_barrier, 0
	.set _ZN2ck17naive_gemm_kernelINS_13tensor_layout4gemm8RowMajorES3_S3_DF16_DF16_DF16_fNS_16tensor_operation12element_wise11PassThroughES6_S6_DF16_DF16_EEvPKT2_PKT3_PT4_iiiT6_T7_T8_.private_seg_size, 0
	.set _ZN2ck17naive_gemm_kernelINS_13tensor_layout4gemm8RowMajorES3_S3_DF16_DF16_DF16_fNS_16tensor_operation12element_wise11PassThroughES6_S6_DF16_DF16_EEvPKT2_PKT3_PT4_iiiT6_T7_T8_.uses_vcc, 1
	.set _ZN2ck17naive_gemm_kernelINS_13tensor_layout4gemm8RowMajorES3_S3_DF16_DF16_DF16_fNS_16tensor_operation12element_wise11PassThroughES6_S6_DF16_DF16_EEvPKT2_PKT3_PT4_iiiT6_T7_T8_.uses_flat_scratch, 0
	.set _ZN2ck17naive_gemm_kernelINS_13tensor_layout4gemm8RowMajorES3_S3_DF16_DF16_DF16_fNS_16tensor_operation12element_wise11PassThroughES6_S6_DF16_DF16_EEvPKT2_PKT3_PT4_iiiT6_T7_T8_.has_dyn_sized_stack, 0
	.set _ZN2ck17naive_gemm_kernelINS_13tensor_layout4gemm8RowMajorES3_S3_DF16_DF16_DF16_fNS_16tensor_operation12element_wise11PassThroughES6_S6_DF16_DF16_EEvPKT2_PKT3_PT4_iiiT6_T7_T8_.has_recursion, 0
	.set _ZN2ck17naive_gemm_kernelINS_13tensor_layout4gemm8RowMajorES3_S3_DF16_DF16_DF16_fNS_16tensor_operation12element_wise11PassThroughES6_S6_DF16_DF16_EEvPKT2_PKT3_PT4_iiiT6_T7_T8_.has_indirect_call, 0
	.section	.AMDGPU.csdata,"",@progbits
; Kernel info:
; codeLenInByte = 376
; TotalNumSgprs: 12
; NumVgprs: 9
; ScratchSize: 0
; MemoryBound: 0
; FloatMode: 240
; IeeeMode: 1
; LDSByteSize: 0 bytes/workgroup (compile time only)
; SGPRBlocks: 0
; VGPRBlocks: 1
; NumSGPRsForWavesPerEU: 12
; NumVGPRsForWavesPerEU: 9
; Occupancy: 16
; WaveLimiterHint : 0
; COMPUTE_PGM_RSRC2:SCRATCH_EN: 0
; COMPUTE_PGM_RSRC2:USER_SGPR: 2
; COMPUTE_PGM_RSRC2:TRAP_HANDLER: 0
; COMPUTE_PGM_RSRC2:TGID_X_EN: 1
; COMPUTE_PGM_RSRC2:TGID_Y_EN: 1
; COMPUTE_PGM_RSRC2:TGID_Z_EN: 0
; COMPUTE_PGM_RSRC2:TIDIG_COMP_CNT: 1
	.section	.AMDGPU.gpr_maximums,"",@progbits
	.set amdgpu.max_num_vgpr, 0
	.set amdgpu.max_num_agpr, 0
	.set amdgpu.max_num_sgpr, 0
	.section	.AMDGPU.csdata,"",@progbits
	.type	__hip_cuid_ef1630d7757a96ba,@object ; @__hip_cuid_ef1630d7757a96ba
	.section	.bss,"aw",@nobits
	.globl	__hip_cuid_ef1630d7757a96ba
__hip_cuid_ef1630d7757a96ba:
	.byte	0                               ; 0x0
	.size	__hip_cuid_ef1630d7757a96ba, 1

	.ident	"AMD clang version 22.0.0git (https://github.com/RadeonOpenCompute/llvm-project roc-7.2.4 26084 f58b06dce1f9c15707c5f808fd002e18c2accf7e)"
	.section	".note.GNU-stack","",@progbits
	.addrsig
	.addrsig_sym __hip_cuid_ef1630d7757a96ba
	.amdgpu_metadata
---
amdhsa.kernels:
  - .args:           []
    .group_segment_fixed_size: 0
    .kernarg_segment_align: 4
    .kernarg_segment_size: 0
    .language:       OpenCL C
    .language_version:
      - 2
      - 0
    .max_flat_workgroup_size: 1024
    .name:           _ZN2ckL12flush_icacheEv
    .private_segment_fixed_size: 0
    .sgpr_count:     0
    .sgpr_spill_count: 0
    .symbol:         _ZN2ckL12flush_icacheEv.kd
    .uniform_work_group_size: 1
    .uses_dynamic_stack: false
    .vgpr_count:     0
    .vgpr_spill_count: 0
    .wavefront_size: 32
    .workgroup_processor_mode: 1
  - .args:
      - .offset:         0
        .size:           96
        .value_kind:     by_value
    .group_segment_fixed_size: 0
    .kernarg_segment_align: 8
    .kernarg_segment_size: 96
    .language:       OpenCL C
    .language_version:
      - 2
      - 0
    .max_flat_workgroup_size: 256
    .name:           _ZN2ck27kernel_gemm_xdl_cshuffle_v2INS_28GridwiseGemm_xdl_cshuffle_v2INS_13tensor_layout4gemm8RowMajorES4_S4_DF16_DF16_fDF16_DF16_NS_16tensor_operation12element_wise11PassThroughES7_S7_LNS5_6device18GemmSpecializationE0ELNS_25InMemoryDataOperationEnumE0ELi2ELi256ELi256ELi256ELi32ELi8ELi4ELi16ELi16ELi8ELi8ENS_8SequenceIJLi4ELi64ELi1EEEENSB_IJLi1ELi0ELi2EEEESD_Li2ELi8ELi8ELb0ELi0ENSB_IJLi8ELi32ELi1EEEENSB_IJLi0ELi2ELi1EEEESF_Li1ELi8ELi4ELb0ELi0ELi1ELi1ENSB_IJLi1ELi32ELi1ELi8EEEELi4ELNS_13LoopSchedulerE0ELNS_15PipelineVersionE0EDF16_DF16_EELb1ELi3EEEvNT_8ArgumentE
    .private_segment_fixed_size: 0
    .sgpr_count:     0
    .sgpr_spill_count: 0
    .symbol:         _ZN2ck27kernel_gemm_xdl_cshuffle_v2INS_28GridwiseGemm_xdl_cshuffle_v2INS_13tensor_layout4gemm8RowMajorES4_S4_DF16_DF16_fDF16_DF16_NS_16tensor_operation12element_wise11PassThroughES7_S7_LNS5_6device18GemmSpecializationE0ELNS_25InMemoryDataOperationEnumE0ELi2ELi256ELi256ELi256ELi32ELi8ELi4ELi16ELi16ELi8ELi8ENS_8SequenceIJLi4ELi64ELi1EEEENSB_IJLi1ELi0ELi2EEEESD_Li2ELi8ELi8ELb0ELi0ENSB_IJLi8ELi32ELi1EEEENSB_IJLi0ELi2ELi1EEEESF_Li1ELi8ELi4ELb0ELi0ELi1ELi1ENSB_IJLi1ELi32ELi1ELi8EEEELi4ELNS_13LoopSchedulerE0ELNS_15PipelineVersionE0EDF16_DF16_EELb1ELi3EEEvNT_8ArgumentE.kd
    .uniform_work_group_size: 1
    .uses_dynamic_stack: false
    .vgpr_count:     0
    .vgpr_spill_count: 0
    .wavefront_size: 32
    .workgroup_processor_mode: 1
  - .args:
      - .offset:         0
        .size:           96
        .value_kind:     by_value
    .group_segment_fixed_size: 0
    .kernarg_segment_align: 8
    .kernarg_segment_size: 96
    .language:       OpenCL C
    .language_version:
      - 2
      - 0
    .max_flat_workgroup_size: 256
    .name:           _ZN2ck27kernel_gemm_xdl_cshuffle_v2INS_28GridwiseGemm_xdl_cshuffle_v2INS_13tensor_layout4gemm8RowMajorES4_S4_DF16_DF16_fDF16_DF16_NS_16tensor_operation12element_wise11PassThroughES7_S7_LNS5_6device18GemmSpecializationE0ELNS_25InMemoryDataOperationEnumE0ELi2ELi256ELi256ELi256ELi32ELi8ELi4ELi16ELi16ELi8ELi8ENS_8SequenceIJLi4ELi64ELi1EEEENSB_IJLi1ELi0ELi2EEEESD_Li2ELi8ELi8ELb0ELi0ENSB_IJLi8ELi32ELi1EEEENSB_IJLi0ELi2ELi1EEEESF_Li1ELi8ELi4ELb0ELi0ELi1ELi1ENSB_IJLi1ELi32ELi1ELi8EEEELi4ELNS_13LoopSchedulerE0ELNS_15PipelineVersionE0EDF16_DF16_EELb1ELi2EEEvNT_8ArgumentE
    .private_segment_fixed_size: 0
    .sgpr_count:     0
    .sgpr_spill_count: 0
    .symbol:         _ZN2ck27kernel_gemm_xdl_cshuffle_v2INS_28GridwiseGemm_xdl_cshuffle_v2INS_13tensor_layout4gemm8RowMajorES4_S4_DF16_DF16_fDF16_DF16_NS_16tensor_operation12element_wise11PassThroughES7_S7_LNS5_6device18GemmSpecializationE0ELNS_25InMemoryDataOperationEnumE0ELi2ELi256ELi256ELi256ELi32ELi8ELi4ELi16ELi16ELi8ELi8ENS_8SequenceIJLi4ELi64ELi1EEEENSB_IJLi1ELi0ELi2EEEESD_Li2ELi8ELi8ELb0ELi0ENSB_IJLi8ELi32ELi1EEEENSB_IJLi0ELi2ELi1EEEESF_Li1ELi8ELi4ELb0ELi0ELi1ELi1ENSB_IJLi1ELi32ELi1ELi8EEEELi4ELNS_13LoopSchedulerE0ELNS_15PipelineVersionE0EDF16_DF16_EELb1ELi2EEEvNT_8ArgumentE.kd
    .uniform_work_group_size: 1
    .uses_dynamic_stack: false
    .vgpr_count:     0
    .vgpr_spill_count: 0
    .wavefront_size: 32
    .workgroup_processor_mode: 1
  - .args:
      - .offset:         0
        .size:           96
        .value_kind:     by_value
    .group_segment_fixed_size: 65536
    .kernarg_segment_align: 8
    .kernarg_segment_size: 96
    .language:       OpenCL C
    .language_version:
      - 2
      - 0
    .max_flat_workgroup_size: 256
    .name:           _ZN2ck27kernel_gemm_xdl_cshuffle_v2INS_28GridwiseGemm_xdl_cshuffle_v2INS_13tensor_layout4gemm8RowMajorES4_S4_DF16_DF16_fDF16_DF16_NS_16tensor_operation12element_wise11PassThroughES7_S7_LNS5_6device18GemmSpecializationE0ELNS_25InMemoryDataOperationEnumE0ELi2ELi256ELi256ELi256ELi32ELi8ELi4ELi16ELi16ELi8ELi4ENS_8SequenceIJLi4ELi64ELi1EEEENSB_IJLi1ELi0ELi2EEEESD_Li2ELi8ELi8ELb0ELi0ENSB_IJLi8ELi32ELi1EEEENSB_IJLi0ELi2ELi1EEEESF_Li1ELi8ELi4ELb0ELi0ELi1ELi1ENSB_IJLi1ELi32ELi1ELi8EEEELi4ELNS_13LoopSchedulerE0ELNS_15PipelineVersionE0EDF16_DF16_EELb1ELi3EEEvNT_8ArgumentE
    .private_segment_fixed_size: 1520
    .sgpr_count:     29
    .sgpr_spill_count: 0
    .symbol:         _ZN2ck27kernel_gemm_xdl_cshuffle_v2INS_28GridwiseGemm_xdl_cshuffle_v2INS_13tensor_layout4gemm8RowMajorES4_S4_DF16_DF16_fDF16_DF16_NS_16tensor_operation12element_wise11PassThroughES7_S7_LNS5_6device18GemmSpecializationE0ELNS_25InMemoryDataOperationEnumE0ELi2ELi256ELi256ELi256ELi32ELi8ELi4ELi16ELi16ELi8ELi4ENS_8SequenceIJLi4ELi64ELi1EEEENSB_IJLi1ELi0ELi2EEEESD_Li2ELi8ELi8ELb0ELi0ENSB_IJLi8ELi32ELi1EEEENSB_IJLi0ELi2ELi1EEEESF_Li1ELi8ELi4ELb0ELi0ELi1ELi1ENSB_IJLi1ELi32ELi1ELi8EEEELi4ELNS_13LoopSchedulerE0ELNS_15PipelineVersionE0EDF16_DF16_EELb1ELi3EEEvNT_8ArgumentE.kd
    .uniform_work_group_size: 1
    .uses_dynamic_stack: false
    .vgpr_count:     256
    .vgpr_spill_count: 1661
    .wavefront_size: 32
    .workgroup_processor_mode: 1
  - .args:
      - .offset:         0
        .size:           96
        .value_kind:     by_value
    .group_segment_fixed_size: 65536
    .kernarg_segment_align: 8
    .kernarg_segment_size: 96
    .language:       OpenCL C
    .language_version:
      - 2
      - 0
    .max_flat_workgroup_size: 256
    .name:           _ZN2ck27kernel_gemm_xdl_cshuffle_v2INS_28GridwiseGemm_xdl_cshuffle_v2INS_13tensor_layout4gemm8RowMajorES4_S4_DF16_DF16_fDF16_DF16_NS_16tensor_operation12element_wise11PassThroughES7_S7_LNS5_6device18GemmSpecializationE0ELNS_25InMemoryDataOperationEnumE0ELi2ELi256ELi256ELi256ELi32ELi8ELi4ELi16ELi16ELi8ELi4ENS_8SequenceIJLi4ELi64ELi1EEEENSB_IJLi1ELi0ELi2EEEESD_Li2ELi8ELi8ELb0ELi0ENSB_IJLi8ELi32ELi1EEEENSB_IJLi0ELi2ELi1EEEESF_Li1ELi8ELi4ELb0ELi0ELi1ELi1ENSB_IJLi1ELi32ELi1ELi8EEEELi4ELNS_13LoopSchedulerE0ELNS_15PipelineVersionE0EDF16_DF16_EELb1ELi2EEEvNT_8ArgumentE
    .private_segment_fixed_size: 1592
    .sgpr_count:     29
    .sgpr_spill_count: 0
    .symbol:         _ZN2ck27kernel_gemm_xdl_cshuffle_v2INS_28GridwiseGemm_xdl_cshuffle_v2INS_13tensor_layout4gemm8RowMajorES4_S4_DF16_DF16_fDF16_DF16_NS_16tensor_operation12element_wise11PassThroughES7_S7_LNS5_6device18GemmSpecializationE0ELNS_25InMemoryDataOperationEnumE0ELi2ELi256ELi256ELi256ELi32ELi8ELi4ELi16ELi16ELi8ELi4ENS_8SequenceIJLi4ELi64ELi1EEEENSB_IJLi1ELi0ELi2EEEESD_Li2ELi8ELi8ELb0ELi0ENSB_IJLi8ELi32ELi1EEEENSB_IJLi0ELi2ELi1EEEESF_Li1ELi8ELi4ELb0ELi0ELi1ELi1ENSB_IJLi1ELi32ELi1ELi8EEEELi4ELNS_13LoopSchedulerE0ELNS_15PipelineVersionE0EDF16_DF16_EELb1ELi2EEEvNT_8ArgumentE.kd
    .uniform_work_group_size: 1
    .uses_dynamic_stack: false
    .vgpr_count:     256
    .vgpr_spill_count: 1509
    .wavefront_size: 32
    .workgroup_processor_mode: 1
  - .args:
      - .actual_access:  read_only
        .address_space:  global
        .offset:         0
        .size:           8
        .value_kind:     global_buffer
      - .actual_access:  read_only
        .address_space:  global
        .offset:         8
        .size:           8
        .value_kind:     global_buffer
      - .actual_access:  write_only
        .address_space:  global
        .offset:         16
        .size:           8
        .value_kind:     global_buffer
      - .offset:         24
        .size:           4
        .value_kind:     by_value
      - .offset:         28
        .size:           4
        .value_kind:     by_value
      - .offset:         32
        .size:           4
        .value_kind:     by_value
      - .offset:         36
        .size:           1
        .value_kind:     by_value
      - .offset:         37
        .size:           1
        .value_kind:     by_value
      - .offset:         38
        .size:           1
        .value_kind:     by_value
      - .offset:         40
        .size:           4
        .value_kind:     hidden_block_count_x
      - .offset:         44
        .size:           4
        .value_kind:     hidden_block_count_y
      - .offset:         48
        .size:           4
        .value_kind:     hidden_block_count_z
      - .offset:         52
        .size:           2
        .value_kind:     hidden_group_size_x
      - .offset:         54
        .size:           2
        .value_kind:     hidden_group_size_y
      - .offset:         56
        .size:           2
        .value_kind:     hidden_group_size_z
      - .offset:         58
        .size:           2
        .value_kind:     hidden_remainder_x
      - .offset:         60
        .size:           2
        .value_kind:     hidden_remainder_y
      - .offset:         62
        .size:           2
        .value_kind:     hidden_remainder_z
      - .offset:         80
        .size:           8
        .value_kind:     hidden_global_offset_x
      - .offset:         88
        .size:           8
        .value_kind:     hidden_global_offset_y
      - .offset:         96
        .size:           8
        .value_kind:     hidden_global_offset_z
      - .offset:         104
        .size:           2
        .value_kind:     hidden_grid_dims
    .group_segment_fixed_size: 0
    .kernarg_segment_align: 8
    .kernarg_segment_size: 296
    .language:       OpenCL C
    .language_version:
      - 2
      - 0
    .max_flat_workgroup_size: 256
    .name:           _ZN2ck17naive_gemm_kernelINS_13tensor_layout4gemm8RowMajorES3_S3_DF16_DF16_DF16_fNS_16tensor_operation12element_wise11PassThroughES6_S6_DF16_DF16_EEvPKT2_PKT3_PT4_iiiT6_T7_T8_
    .private_segment_fixed_size: 0
    .sgpr_count:     12
    .sgpr_spill_count: 0
    .symbol:         _ZN2ck17naive_gemm_kernelINS_13tensor_layout4gemm8RowMajorES3_S3_DF16_DF16_DF16_fNS_16tensor_operation12element_wise11PassThroughES6_S6_DF16_DF16_EEvPKT2_PKT3_PT4_iiiT6_T7_T8_.kd
    .uniform_work_group_size: 1
    .uses_dynamic_stack: false
    .vgpr_count:     9
    .vgpr_spill_count: 0
    .wavefront_size: 32
    .workgroup_processor_mode: 1
amdhsa.target:   amdgcn-amd-amdhsa--gfx1201
amdhsa.version:
  - 1
  - 2
...

	.end_amdgpu_metadata
